;; amdgpu-corpus repo=vllm-project/vllm kind=compiled arch=gfx1250 opt=O3
	.amdgcn_target "amdgcn-amd-amdhsa--gfx1250"
	.amdhsa_code_object_version 6
	.text
	.protected	_Z22compute_expert_offsetsPKiPiS1_ib ; -- Begin function _Z22compute_expert_offsetsPKiPiS1_ib
	.globl	_Z22compute_expert_offsetsPKiPiS1_ib
	.p2align	8
	.type	_Z22compute_expert_offsetsPKiPiS1_ib,@function
_Z22compute_expert_offsetsPKiPiS1_ib:   ; @_Z22compute_expert_offsetsPKiPiS1_ib
; %bb.0:
	s_clause 0x1
	s_load_b64 s[2:3], s[0:1], 0x18
	s_load_b128 s[4:7], s[0:1], 0x8
	v_mov_b32_e32 v0, 0
	s_wait_kmcnt 0x0
	s_cmp_lt_i32 s2, 1
	global_store_b32 v0, v0, s[4:5]
	s_cbranch_scc1 .LBB0_3
; %bb.1:
	s_load_b64 s[8:9], s[0:1], 0x0
	s_bitcmp1_b32 s3, 0
	s_wait_xcnt 0x0
	s_mov_b32 s1, 0
	s_cselect_b32 s0, 4, 0
	s_add_nc_u64 s[4:5], s[4:5], 4
	s_wait_kmcnt 0x0
	s_add_nc_u64 s[8:9], s[8:9], s[0:1]
.LBB0_2:                                ; =>This Inner Loop Header: Depth=1
	s_load_b32 s0, s[8:9], 0x0
	v_mov_b32_e32 v1, s1
	s_add_co_i32 s2, s2, -1
	s_wait_xcnt 0x0
	s_add_nc_u64 s[8:9], s[8:9], 12
	s_wait_kmcnt 0x0
	s_add_co_i32 s1, s0, s1
	s_cmp_eq_u32 s2, 0
	v_mov_b32_e32 v2, s1
	global_store_b32 v0, v1, s[6:7]
	s_wait_xcnt 0x0
	s_add_nc_u64 s[6:7], s[6:7], 4
	global_store_b32 v0, v2, s[4:5]
	s_wait_xcnt 0x0
	s_add_nc_u64 s[4:5], s[4:5], 4
	s_cbranch_scc0 .LBB0_2
.LBB0_3:
	s_endpgm
	.section	.rodata,"a",@progbits
	.p2align	6, 0x0
	.amdhsa_kernel _Z22compute_expert_offsetsPKiPiS1_ib
		.amdhsa_group_segment_fixed_size 0
		.amdhsa_private_segment_fixed_size 0
		.amdhsa_kernarg_size 32
		.amdhsa_user_sgpr_count 2
		.amdhsa_user_sgpr_dispatch_ptr 0
		.amdhsa_user_sgpr_queue_ptr 0
		.amdhsa_user_sgpr_kernarg_segment_ptr 1
		.amdhsa_user_sgpr_dispatch_id 0
		.amdhsa_user_sgpr_kernarg_preload_length 0
		.amdhsa_user_sgpr_kernarg_preload_offset 0
		.amdhsa_user_sgpr_private_segment_size 0
		.amdhsa_wavefront_size32 1
		.amdhsa_uses_dynamic_stack 0
		.amdhsa_enable_private_segment 0
		.amdhsa_system_sgpr_workgroup_id_x 1
		.amdhsa_system_sgpr_workgroup_id_y 0
		.amdhsa_system_sgpr_workgroup_id_z 0
		.amdhsa_system_sgpr_workgroup_info 0
		.amdhsa_system_vgpr_workitem_id 0
		.amdhsa_next_free_vgpr 3
		.amdhsa_next_free_sgpr 10
		.amdhsa_named_barrier_count 0
		.amdhsa_reserve_vcc 0
		.amdhsa_float_round_mode_32 0
		.amdhsa_float_round_mode_16_64 0
		.amdhsa_float_denorm_mode_32 3
		.amdhsa_float_denorm_mode_16_64 3
		.amdhsa_fp16_overflow 0
		.amdhsa_memory_ordered 1
		.amdhsa_forward_progress 1
		.amdhsa_inst_pref_size 2
		.amdhsa_round_robin_scheduling 0
		.amdhsa_exception_fp_ieee_invalid_op 0
		.amdhsa_exception_fp_denorm_src 0
		.amdhsa_exception_fp_ieee_div_zero 0
		.amdhsa_exception_fp_ieee_overflow 0
		.amdhsa_exception_fp_ieee_underflow 0
		.amdhsa_exception_fp_ieee_inexact 0
		.amdhsa_exception_int_div_zero 0
	.end_amdhsa_kernel
	.text
.Lfunc_end0:
	.size	_Z22compute_expert_offsetsPKiPiS1_ib, .Lfunc_end0-_Z22compute_expert_offsetsPKiPiS1_ib
                                        ; -- End function
	.set _Z22compute_expert_offsetsPKiPiS1_ib.num_vgpr, 3
	.set _Z22compute_expert_offsetsPKiPiS1_ib.num_agpr, 0
	.set _Z22compute_expert_offsetsPKiPiS1_ib.numbered_sgpr, 10
	.set _Z22compute_expert_offsetsPKiPiS1_ib.num_named_barrier, 0
	.set _Z22compute_expert_offsetsPKiPiS1_ib.private_seg_size, 0
	.set _Z22compute_expert_offsetsPKiPiS1_ib.uses_vcc, 0
	.set _Z22compute_expert_offsetsPKiPiS1_ib.uses_flat_scratch, 0
	.set _Z22compute_expert_offsetsPKiPiS1_ib.has_dyn_sized_stack, 0
	.set _Z22compute_expert_offsetsPKiPiS1_ib.has_recursion, 0
	.set _Z22compute_expert_offsetsPKiPiS1_ib.has_indirect_call, 0
	.section	.AMDGPU.csdata,"",@progbits
; Kernel info:
; codeLenInByte = 172
; TotalNumSgprs: 10
; NumVgprs: 3
; ScratchSize: 0
; MemoryBound: 0
; FloatMode: 240
; IeeeMode: 1
; LDSByteSize: 0 bytes/workgroup (compile time only)
; SGPRBlocks: 0
; VGPRBlocks: 0
; NumSGPRsForWavesPerEU: 10
; NumVGPRsForWavesPerEU: 3
; NamedBarCnt: 0
; Occupancy: 16
; WaveLimiterHint : 0
; COMPUTE_PGM_RSRC2:SCRATCH_EN: 0
; COMPUTE_PGM_RSRC2:USER_SGPR: 2
; COMPUTE_PGM_RSRC2:TRAP_HANDLER: 0
; COMPUTE_PGM_RSRC2:TGID_X_EN: 1
; COMPUTE_PGM_RSRC2:TGID_Y_EN: 0
; COMPUTE_PGM_RSRC2:TGID_Z_EN: 0
; COMPUTE_PGM_RSRC2:TIDIG_COMP_CNT: 0
	.text
	.protected	_Z33compute_expert_blockscale_offsetsPKiPiS1_S1_ib ; -- Begin function _Z33compute_expert_blockscale_offsetsPKiPiS1_S1_ib
	.globl	_Z33compute_expert_blockscale_offsetsPKiPiS1_S1_ib
	.p2align	8
	.type	_Z33compute_expert_blockscale_offsetsPKiPiS1_S1_ib,@function
_Z33compute_expert_blockscale_offsetsPKiPiS1_S1_ib: ; @_Z33compute_expert_blockscale_offsetsPKiPiS1_S1_ib
; %bb.0:
	s_clause 0x1
	s_load_b64 s[2:3], s[0:1], 0x20
	s_load_b128 s[4:7], s[0:1], 0x8
	v_mov_b32_e32 v0, 0
	s_wait_kmcnt 0x0
	s_clause 0x1
	global_store_b32 v0, v0, s[4:5]
	global_store_b32 v0, v0, s[6:7]
	s_cmp_lt_i32 s2, 1
	s_cbranch_scc1 .LBB1_3
; %bb.1:
	s_clause 0x1
	s_load_b64 s[10:11], s[0:1], 0x0
	s_load_b64 s[8:9], s[0:1], 0x18
	s_bitcmp1_b32 s3, 0
	s_wait_xcnt 0x0
	s_mov_b32 s1, 0
	s_cselect_b32 s0, 4, 0
	s_add_nc_u64 s[6:7], s[6:7], 4
	s_add_nc_u64 s[4:5], s[4:5], 4
	s_wait_kmcnt 0x0
	s_add_nc_u64 s[10:11], s[10:11], s[0:1]
	s_mov_b32 s0, s1
.LBB1_2:                                ; =>This Inner Loop Header: Depth=1
	s_load_b32 s3, s[10:11], 0x0
	v_mov_b32_e32 v1, s1
	s_add_co_i32 s2, s2, -1
	s_wait_xcnt 0x0
	s_add_nc_u64 s[10:11], s[10:11], 12
	s_wait_kmcnt 0x0
	s_add_co_i32 s12, s3, 0x7f
	s_add_co_i32 s1, s3, s1
	s_ashr_i32 s3, s12, 31
	s_delay_alu instid0(SALU_CYCLE_1) | instskip(NEXT) | instid1(SALU_CYCLE_1)
	s_lshr_b32 s3, s3, 25
	s_add_co_i32 s12, s12, s3
	s_delay_alu instid0(SALU_CYCLE_1) | instskip(NEXT) | instid1(SALU_CYCLE_1)
	s_and_b32 s3, s12, 0xffffff80
	s_add_co_i32 s0, s3, s0
	s_cmp_eq_u32 s2, 0
	v_mov_b32_e32 v2, s0
	global_store_b32 v0, v1, s[8:9]
	s_wait_xcnt 0x0
	v_mov_b32_e32 v1, s1
	s_add_nc_u64 s[8:9], s[8:9], 4
	global_store_b32 v0, v1, s[4:5]
	s_wait_xcnt 0x0
	s_add_nc_u64 s[4:5], s[4:5], 4
	global_store_b32 v0, v2, s[6:7]
	s_wait_xcnt 0x0
	s_add_nc_u64 s[6:7], s[6:7], 4
	s_cbranch_scc0 .LBB1_2
.LBB1_3:
	s_endpgm
	.section	.rodata,"a",@progbits
	.p2align	6, 0x0
	.amdhsa_kernel _Z33compute_expert_blockscale_offsetsPKiPiS1_S1_ib
		.amdhsa_group_segment_fixed_size 0
		.amdhsa_private_segment_fixed_size 0
		.amdhsa_kernarg_size 40
		.amdhsa_user_sgpr_count 2
		.amdhsa_user_sgpr_dispatch_ptr 0
		.amdhsa_user_sgpr_queue_ptr 0
		.amdhsa_user_sgpr_kernarg_segment_ptr 1
		.amdhsa_user_sgpr_dispatch_id 0
		.amdhsa_user_sgpr_kernarg_preload_length 0
		.amdhsa_user_sgpr_kernarg_preload_offset 0
		.amdhsa_user_sgpr_private_segment_size 0
		.amdhsa_wavefront_size32 1
		.amdhsa_uses_dynamic_stack 0
		.amdhsa_enable_private_segment 0
		.amdhsa_system_sgpr_workgroup_id_x 1
		.amdhsa_system_sgpr_workgroup_id_y 0
		.amdhsa_system_sgpr_workgroup_id_z 0
		.amdhsa_system_sgpr_workgroup_info 0
		.amdhsa_system_vgpr_workitem_id 0
		.amdhsa_next_free_vgpr 3
		.amdhsa_next_free_sgpr 13
		.amdhsa_named_barrier_count 0
		.amdhsa_reserve_vcc 0
		.amdhsa_float_round_mode_32 0
		.amdhsa_float_round_mode_16_64 0
		.amdhsa_float_denorm_mode_32 3
		.amdhsa_float_denorm_mode_16_64 3
		.amdhsa_fp16_overflow 0
		.amdhsa_memory_ordered 1
		.amdhsa_forward_progress 1
		.amdhsa_inst_pref_size 3
		.amdhsa_round_robin_scheduling 0
		.amdhsa_exception_fp_ieee_invalid_op 0
		.amdhsa_exception_fp_denorm_src 0
		.amdhsa_exception_fp_ieee_div_zero 0
		.amdhsa_exception_fp_ieee_overflow 0
		.amdhsa_exception_fp_ieee_underflow 0
		.amdhsa_exception_fp_ieee_inexact 0
		.amdhsa_exception_int_div_zero 0
	.end_amdhsa_kernel
	.text
.Lfunc_end1:
	.size	_Z33compute_expert_blockscale_offsetsPKiPiS1_S1_ib, .Lfunc_end1-_Z33compute_expert_blockscale_offsetsPKiPiS1_S1_ib
                                        ; -- End function
	.set _Z33compute_expert_blockscale_offsetsPKiPiS1_S1_ib.num_vgpr, 3
	.set _Z33compute_expert_blockscale_offsetsPKiPiS1_S1_ib.num_agpr, 0
	.set _Z33compute_expert_blockscale_offsetsPKiPiS1_S1_ib.numbered_sgpr, 13
	.set _Z33compute_expert_blockscale_offsetsPKiPiS1_S1_ib.num_named_barrier, 0
	.set _Z33compute_expert_blockscale_offsetsPKiPiS1_S1_ib.private_seg_size, 0
	.set _Z33compute_expert_blockscale_offsetsPKiPiS1_S1_ib.uses_vcc, 0
	.set _Z33compute_expert_blockscale_offsetsPKiPiS1_S1_ib.uses_flat_scratch, 0
	.set _Z33compute_expert_blockscale_offsetsPKiPiS1_S1_ib.has_dyn_sized_stack, 0
	.set _Z33compute_expert_blockscale_offsetsPKiPiS1_S1_ib.has_recursion, 0
	.set _Z33compute_expert_blockscale_offsetsPKiPiS1_S1_ib.has_indirect_call, 0
	.section	.AMDGPU.csdata,"",@progbits
; Kernel info:
; codeLenInByte = 272
; TotalNumSgprs: 13
; NumVgprs: 3
; ScratchSize: 0
; MemoryBound: 0
; FloatMode: 240
; IeeeMode: 1
; LDSByteSize: 0 bytes/workgroup (compile time only)
; SGPRBlocks: 0
; VGPRBlocks: 0
; NumSGPRsForWavesPerEU: 13
; NumVGPRsForWavesPerEU: 3
; NamedBarCnt: 0
; Occupancy: 16
; WaveLimiterHint : 0
; COMPUTE_PGM_RSRC2:SCRATCH_EN: 0
; COMPUTE_PGM_RSRC2:USER_SGPR: 2
; COMPUTE_PGM_RSRC2:TRAP_HANDLER: 0
; COMPUTE_PGM_RSRC2:TGID_X_EN: 1
; COMPUTE_PGM_RSRC2:TGID_Y_EN: 0
; COMPUTE_PGM_RSRC2:TGID_Z_EN: 0
; COMPUTE_PGM_RSRC2:TIDIG_COMP_CNT: 0
	.text
	.protected	_Z17compute_arg_sortsPKiS0_PiS1_S1_ii ; -- Begin function _Z17compute_arg_sortsPKiS0_PiS1_S1_ii
	.globl	_Z17compute_arg_sortsPKiS0_PiS1_S1_ii
	.p2align	8
	.type	_Z17compute_arg_sortsPKiS0_PiS1_S1_ii,@function
_Z17compute_arg_sortsPKiS0_PiS1_S1_ii:  ; @_Z17compute_arg_sortsPKiS0_PiS1_S1_ii
; %bb.0:
	s_load_b64 s[2:3], s[0:1], 0x28
	s_mov_b32 s4, exec_lo
	s_wait_kmcnt 0x0
	v_cmpx_gt_i32_e64 s2, v0
	s_cbranch_execz .LBB2_11
; %bb.1:
	s_clause 0x1
	s_load_b32 s14, s[0:1], 0x30
	s_load_b64 s[18:19], s[0:1], 0x20
	s_bfe_u32 s12, ttmp6, 0x4000c
	s_load_b256 s[4:11], s[0:1], 0x0
	s_add_co_i32 s12, s12, 1
	s_and_b32 s13, ttmp6, 15
	s_mul_i32 s12, ttmp9, s12
	s_getreg_b32 s15, hwreg(HW_REG_IB_STS2, 6, 4)
	s_add_co_i32 s13, s13, s12
	s_cmp_eq_u32 s15, 0
	v_mov_b32_e32 v3, 0
	s_cselect_b32 s12, ttmp9, s13
	s_wait_kmcnt 0x0
	s_ashr_i32 s15, s14, 31
	s_delay_alu instid0(SALU_CYCLE_1)
	s_lshl_b64 s[16:17], s[14:15], 2
	s_cmp_eq_u32 s12, 0
	s_add_nc_u64 s[0:1], s[6:7], s[16:17]
	s_cselect_b32 s20, -1, 0
	s_abs_i32 s14, s3
	s_load_b32 s15, s[0:1], 0x0
	s_cvt_f32_u32 s13, s14
	s_sub_co_i32 s16, 0, s14
	s_wait_xcnt 0x0
	s_mov_b32 s1, 0
	s_ashr_i32 s3, s3, 31
	v_rcp_iflag_f32_e32 v1, s13
	s_ashr_i32 s13, s12, 31
	s_delay_alu instid0(SALU_CYCLE_1) | instskip(SKIP_3) | instid1(TRANS32_DEP_1)
	s_lshl_b64 s[6:7], s[12:13], 2
	s_xor_b32 s13, s20, -1
	s_add_nc_u64 s[6:7], s[18:19], s[6:7]
	v_nop
	v_readfirstlane_b32 s0, v1
	s_mul_f32 s0, s0, 0x4f7ffffe
	s_delay_alu instid0(SALU_CYCLE_3) | instskip(NEXT) | instid1(SALU_CYCLE_3)
	s_cvt_u32_f32 s0, s0
	s_mul_i32 s16, s16, s0
	s_delay_alu instid0(SALU_CYCLE_1) | instskip(NEXT) | instid1(SALU_CYCLE_1)
	s_mul_hi_u32 s16, s0, s16
	s_add_co_i32 s0, s0, s16
	s_mov_b32 s16, s1
	s_branch .LBB2_3
.LBB2_2:                                ;   in Loop: Header=BB2_3 Depth=1
	s_wait_xcnt 0x0
	s_or_b32 exec_lo, exec_lo, s17
	v_add_nc_u32_e32 v0, 0x200, v0
	s_delay_alu instid0(VALU_DEP_1) | instskip(SKIP_1) | instid1(SALU_CYCLE_1)
	v_cmp_le_i32_e32 vcc_lo, s2, v0
	s_or_b32 s16, vcc_lo, s16
	s_and_not1_b32 exec_lo, exec_lo, s16
	s_cbranch_execz .LBB2_11
.LBB2_3:                                ; =>This Inner Loop Header: Depth=1
	global_load_b32 v4, v0, s[4:5] scale_offset
	s_wait_kmcnt 0x0
	v_dual_mov_b32 v2, s15 :: v_dual_ashrrev_i32 v1, 31, v0
	s_mov_b32 s18, -1
	s_wait_loadcnt 0x0
	v_cmp_ne_u32_e32 vcc_lo, -1, v4
	s_or_b32 s19, s13, vcc_lo
	s_wait_xcnt 0x0
	s_and_saveexec_b32 s17, s19
	s_cbranch_execz .LBB2_9
; %bb.4:                                ;   in Loop: Header=BB2_3 Depth=1
	s_mov_b32 s19, 0
	s_mov_b32 s18, exec_lo
                                        ; implicit-def: $vgpr2
	v_cmpx_eq_u32_e64 s12, v4
	s_cbranch_execz .LBB2_8
; %bb.5:                                ;   in Loop: Header=BB2_3 Depth=1
	s_mov_b32 s20, exec_lo
	s_mov_b32 s19, exec_lo
	v_mbcnt_lo_u32_b32 v4, s20, 0
                                        ; implicit-def: $vgpr5
	s_delay_alu instid0(VALU_DEP_1)
	v_cmpx_eq_u32_e32 0, v4
	s_cbranch_execz .LBB2_7
; %bb.6:                                ;   in Loop: Header=BB2_3 Depth=1
	s_bcnt1_i32_b32 s20, s20
	s_delay_alu instid0(SALU_CYCLE_1)
	v_mov_b32_e32 v2, s20
	global_atomic_add_u32 v5, v3, v2, s[6:7] th:TH_ATOMIC_RETURN scope:SCOPE_DEV
.LBB2_7:                                ;   in Loop: Header=BB2_3 Depth=1
	s_wait_xcnt 0x0
	s_or_b32 exec_lo, exec_lo, s19
	v_sub_nc_u32_e32 v2, 0, v0
	s_wait_loadcnt 0x0
	v_readfirstlane_b32 s20, v5
	s_mov_b32 s19, exec_lo
	v_max_i32_e32 v2, v0, v2
	s_delay_alu instid0(VALU_DEP_1) | instskip(NEXT) | instid1(VALU_DEP_1)
	v_mul_u64_e32 v[6:7], s[0:1], v[2:3]
	v_mul_lo_u32 v6, v7, s14
	s_delay_alu instid0(VALU_DEP_1) | instskip(NEXT) | instid1(VALU_DEP_1)
	v_dual_sub_nc_u32 v2, v2, v6 :: v_dual_add_nc_u32 v6, 1, v7
	v_cmp_le_u32_e32 vcc_lo, s14, v2
	s_delay_alu instid0(VALU_DEP_2) | instskip(SKIP_2) | instid1(VALU_DEP_2)
	v_cndmask_b32_e32 v6, v7, v6, vcc_lo
	v_subrev_nc_u32_e32 v8, s14, v2
	v_ashrrev_i32_e32 v7, 31, v0
	v_dual_cndmask_b32 v2, v2, v8, vcc_lo :: v_dual_add_nc_u32 v8, 1, v6
	s_delay_alu instid0(VALU_DEP_1) | instskip(NEXT) | instid1(VALU_DEP_2)
	v_cmp_le_u32_e32 vcc_lo, s14, v2
	v_dual_cndmask_b32 v2, v6, v8, vcc_lo :: v_dual_bitop2_b32 v7, s3, v7 bitop3:0x14
	s_delay_alu instid0(VALU_DEP_1) | instskip(NEXT) | instid1(VALU_DEP_1)
	v_dual_add_nc_u32 v2, s20, v4 :: v_dual_bitop2_b32 v5, v2, v7 bitop3:0x14
	v_sub_nc_u32_e32 v4, v5, v7
	global_store_b32 v2, v4, s[8:9] scale_offset
.LBB2_8:                                ;   in Loop: Header=BB2_3 Depth=1
	s_wait_xcnt 0x0
	s_or_b32 exec_lo, exec_lo, s18
	s_delay_alu instid0(SALU_CYCLE_1)
	s_or_not1_b32 s18, s19, exec_lo
.LBB2_9:                                ;   in Loop: Header=BB2_3 Depth=1
	s_or_b32 exec_lo, exec_lo, s17
	s_and_saveexec_b32 s17, s18
	s_cbranch_execz .LBB2_2
; %bb.10:                               ;   in Loop: Header=BB2_3 Depth=1
	v_lshl_add_u64 v[4:5], v[0:1], 2, s[10:11]
	global_store_b32 v[4:5], v2, off
	s_branch .LBB2_2
.LBB2_11:
	s_endpgm
	.section	.rodata,"a",@progbits
	.p2align	6, 0x0
	.amdhsa_kernel _Z17compute_arg_sortsPKiS0_PiS1_S1_ii
		.amdhsa_group_segment_fixed_size 0
		.amdhsa_private_segment_fixed_size 0
		.amdhsa_kernarg_size 304
		.amdhsa_user_sgpr_count 2
		.amdhsa_user_sgpr_dispatch_ptr 0
		.amdhsa_user_sgpr_queue_ptr 0
		.amdhsa_user_sgpr_kernarg_segment_ptr 1
		.amdhsa_user_sgpr_dispatch_id 0
		.amdhsa_user_sgpr_kernarg_preload_length 0
		.amdhsa_user_sgpr_kernarg_preload_offset 0
		.amdhsa_user_sgpr_private_segment_size 0
		.amdhsa_wavefront_size32 1
		.amdhsa_uses_dynamic_stack 0
		.amdhsa_enable_private_segment 0
		.amdhsa_system_sgpr_workgroup_id_x 1
		.amdhsa_system_sgpr_workgroup_id_y 0
		.amdhsa_system_sgpr_workgroup_id_z 0
		.amdhsa_system_sgpr_workgroup_info 0
		.amdhsa_system_vgpr_workitem_id 0
		.amdhsa_next_free_vgpr 9
		.amdhsa_next_free_sgpr 21
		.amdhsa_named_barrier_count 0
		.amdhsa_reserve_vcc 1
		.amdhsa_float_round_mode_32 0
		.amdhsa_float_round_mode_16_64 0
		.amdhsa_float_denorm_mode_32 3
		.amdhsa_float_denorm_mode_16_64 3
		.amdhsa_fp16_overflow 0
		.amdhsa_memory_ordered 1
		.amdhsa_forward_progress 1
		.amdhsa_inst_pref_size 5
		.amdhsa_round_robin_scheduling 0
		.amdhsa_exception_fp_ieee_invalid_op 0
		.amdhsa_exception_fp_denorm_src 0
		.amdhsa_exception_fp_ieee_div_zero 0
		.amdhsa_exception_fp_ieee_overflow 0
		.amdhsa_exception_fp_ieee_underflow 0
		.amdhsa_exception_fp_ieee_inexact 0
		.amdhsa_exception_int_div_zero 0
	.end_amdhsa_kernel
	.text
.Lfunc_end2:
	.size	_Z17compute_arg_sortsPKiS0_PiS1_S1_ii, .Lfunc_end2-_Z17compute_arg_sortsPKiS0_PiS1_S1_ii
                                        ; -- End function
	.set _Z17compute_arg_sortsPKiS0_PiS1_S1_ii.num_vgpr, 9
	.set _Z17compute_arg_sortsPKiS0_PiS1_S1_ii.num_agpr, 0
	.set _Z17compute_arg_sortsPKiS0_PiS1_S1_ii.numbered_sgpr, 21
	.set _Z17compute_arg_sortsPKiS0_PiS1_S1_ii.num_named_barrier, 0
	.set _Z17compute_arg_sortsPKiS0_PiS1_S1_ii.private_seg_size, 0
	.set _Z17compute_arg_sortsPKiS0_PiS1_S1_ii.uses_vcc, 1
	.set _Z17compute_arg_sortsPKiS0_PiS1_S1_ii.uses_flat_scratch, 0
	.set _Z17compute_arg_sortsPKiS0_PiS1_S1_ii.has_dyn_sized_stack, 0
	.set _Z17compute_arg_sortsPKiS0_PiS1_S1_ii.has_recursion, 0
	.set _Z17compute_arg_sortsPKiS0_PiS1_S1_ii.has_indirect_call, 0
	.section	.AMDGPU.csdata,"",@progbits
; Kernel info:
; codeLenInByte = 588
; TotalNumSgprs: 23
; NumVgprs: 9
; ScratchSize: 0
; MemoryBound: 0
; FloatMode: 240
; IeeeMode: 1
; LDSByteSize: 0 bytes/workgroup (compile time only)
; SGPRBlocks: 0
; VGPRBlocks: 0
; NumSGPRsForWavesPerEU: 23
; NumVGPRsForWavesPerEU: 9
; NamedBarCnt: 0
; Occupancy: 16
; WaveLimiterHint : 0
; COMPUTE_PGM_RSRC2:SCRATCH_EN: 0
; COMPUTE_PGM_RSRC2:USER_SGPR: 2
; COMPUTE_PGM_RSRC2:TRAP_HANDLER: 0
; COMPUTE_PGM_RSRC2:TGID_X_EN: 1
; COMPUTE_PGM_RSRC2:TGID_Y_EN: 0
; COMPUTE_PGM_RSRC2:TGID_Z_EN: 0
; COMPUTE_PGM_RSRC2:TIDIG_COMP_CNT: 0
	.section	.text._Z21compute_problem_sizesILb1EEvPKiPiS2_S2_iiib,"axG",@progbits,_Z21compute_problem_sizesILb1EEvPKiPiS2_S2_iiib,comdat
	.protected	_Z21compute_problem_sizesILb1EEvPKiPiS2_S2_iiib ; -- Begin function _Z21compute_problem_sizesILb1EEvPKiPiS2_S2_iiib
	.globl	_Z21compute_problem_sizesILb1EEvPKiPiS2_S2_iiib
	.p2align	8
	.type	_Z21compute_problem_sizesILb1EEvPKiPiS2_S2_iiib,@function
_Z21compute_problem_sizesILb1EEvPKiPiS2_S2_iiib: ; @_Z21compute_problem_sizesILb1EEvPKiPiS2_S2_iiib
; %bb.0:
	s_load_b128 s[4:7], s[0:1], 0x20
	s_bfe_u32 s2, ttmp6, 0x4000c
	s_and_b32 s3, ttmp6, 15
	s_add_co_i32 s2, s2, 1
	s_getreg_b32 s8, hwreg(HW_REG_IB_STS2, 6, 4)
	s_mul_i32 s2, ttmp9, s2
	v_mov_b32_e32 v1, 0
	s_add_co_i32 s3, s3, s2
	s_cmp_eq_u32 s8, 0
	s_mov_b32 s12, 0
	s_cselect_b32 s8, ttmp9, s3
	s_mov_b32 s3, exec_lo
	s_wait_kmcnt 0x0
	v_cmpx_gt_i32_e64 s4, v0
	s_cbranch_execz .LBB3_10
; %bb.1:
	s_load_b64 s[10:11], s[0:1], 0x0
	v_xad_u32 v3, v0, -1, s4
	v_dual_mov_b32 v1, 0 :: v_dual_mov_b32 v2, v0
	s_mov_b32 s2, -1
	s_mov_b32 s9, exec_lo
	s_delay_alu instid0(VALU_DEP_2)
	v_cmpx_lt_u32_e32 0x1ff, v3
	s_cbranch_execz .LBB3_5
; %bb.2:
	v_dual_lshrrev_b32 v1, 9, v3 :: v_dual_mov_b32 v3, 0
	s_mov_b32 s14, s8
	s_mov_b32 s13, 0
	s_delay_alu instid0(VALU_DEP_1) | instskip(SKIP_1) | instid1(VALU_DEP_2)
	v_dual_mov_b32 v8, 0 :: v_dual_add_nc_u32 v6, 1, v1
	v_add_nc_u32_e32 v1, 0x200, v0
	v_and_b32_e32 v7, 0xfffffe, v6
	s_delay_alu instid0(VALU_DEP_2) | instskip(NEXT) | instid1(VALU_DEP_2)
	v_mov_b64_e32 v[4:5], v[0:1]
	v_dual_mov_b32 v1, 0 :: v_dual_mov_b32 v9, v7
.LBB3_3:                                ; =>This Inner Loop Header: Depth=1
	s_delay_alu instid0(VALU_DEP_1) | instskip(SKIP_2) | instid1(VALU_DEP_2)
	v_dual_mov_b32 v2, v4 :: v_dual_add_nc_u32 v9, -2, v9
	v_add_nc_u32_e32 v4, 0x400, v4
	s_wait_kmcnt 0x0
	v_lshl_add_u64 v[10:11], v[2:3], 2, s[10:11]
	v_dual_mov_b32 v2, v5 :: v_dual_add_nc_u32 v5, 0x400, v5
	v_cmp_eq_u32_e32 vcc_lo, 0, v9
	s_delay_alu instid0(VALU_DEP_2)
	v_lshl_add_u64 v[12:13], v[2:3], 2, s[10:11]
	s_clause 0x1
	global_load_b32 v2, v[10:11], off
	global_load_b32 v14, v[12:13], off
	s_or_b32 s13, vcc_lo, s13
	s_wait_loadcnt 0x1
	v_cmp_eq_u32_e64 s2, s8, v2
	s_delay_alu instid0(VALU_DEP_1) | instskip(SKIP_2) | instid1(VALU_DEP_1)
	v_add_co_ci_u32_e64 v1, null, 0, v1, s2
	s_wait_loadcnt 0x0
	v_cmp_eq_u32_e64 s2, s14, v14
	v_add_co_ci_u32_e64 v8, null, 0, v8, s2
	s_and_not1_b32 exec_lo, exec_lo, s13
	s_cbranch_execnz .LBB3_3
; %bb.4:
	s_or_b32 exec_lo, exec_lo, s13
	v_cmp_ne_u32_e32 vcc_lo, v6, v7
	v_lshl_or_b32 v2, v7, 9, v0
	v_add_nc_u32_e32 v1, v1, v8
	s_or_not1_b32 s2, vcc_lo, exec_lo
.LBB3_5:
	s_or_b32 exec_lo, exec_lo, s9
	s_and_saveexec_b32 s9, s2
	s_cbranch_execz .LBB3_9
; %bb.6:
	v_mov_b32_e32 v3, 0
	s_wait_kmcnt 0x0
	s_delay_alu instid0(VALU_DEP_1)
	v_lshl_add_u64 v[4:5], v[2:3], 2, s[10:11]
	s_mov_b32 s10, 0
.LBB3_7:                                ; =>This Inner Loop Header: Depth=1
	global_load_b32 v3, v[4:5], off
	v_add_nc_u32_e32 v2, 0x200, v2
	s_wait_xcnt 0x0
	v_add_nc_u64_e32 v[4:5], 0x800, v[4:5]
	s_delay_alu instid0(VALU_DEP_2) | instskip(SKIP_3) | instid1(VALU_DEP_1)
	v_cmp_le_i32_e32 vcc_lo, s4, v2
	s_or_b32 s10, vcc_lo, s10
	s_wait_loadcnt 0x0
	v_cmp_eq_u32_e64 s2, s8, v3
	v_add_co_ci_u32_e64 v1, null, 0, v1, s2
	s_and_not1_b32 exec_lo, exec_lo, s10
	s_cbranch_execnz .LBB3_7
; %bb.8:
	s_or_b32 exec_lo, exec_lo, s10
.LBB3_9:
	s_delay_alu instid0(SALU_CYCLE_1)
	s_or_b32 exec_lo, exec_lo, s9
.LBB3_10:
	s_delay_alu instid0(SALU_CYCLE_1) | instskip(NEXT) | instid1(SALU_CYCLE_1)
	s_or_b32 exec_lo, exec_lo, s3
	s_mov_b32 s2, exec_lo
.LBB3_11:                               ; =>This Inner Loop Header: Depth=1
	s_delay_alu instid0(SALU_CYCLE_1) | instskip(NEXT) | instid1(SALU_CYCLE_1)
	s_ctz_i32_b32 s3, s2
	v_readlane_b32 s4, v1, s3
	s_lshl_b32 s3, 1, s3
	s_delay_alu instid0(SALU_CYCLE_1)
	s_and_not1_b32 s2, s2, s3
	s_add_co_i32 s12, s12, s4
	s_cmp_lg_u32 s2, 0
	s_cbranch_scc1 .LBB3_11
; %bb.12:
	s_load_b64 s[2:3], s[0:1], 0x18
	s_ashr_i32 s9, s8, 31
	v_mbcnt_lo_u32_b32 v1, exec_lo, 0
	s_wait_kmcnt 0x0
	s_lshl_b64 s[10:11], s[8:9], 2
	s_mov_b32 s4, exec_lo
	s_add_nc_u64 s[2:3], s[2:3], s[10:11]
	v_cmpx_eq_u32_e32 0, v1
	s_xor_b32 s4, exec_lo, s4
	s_cbranch_execz .LBB3_14
; %bb.13:
	v_dual_mov_b32 v1, 0 :: v_dual_mov_b32 v2, s12
	global_atomic_add_u32 v1, v2, s[2:3] scope:SCOPE_DEV
.LBB3_14:
	s_wait_xcnt 0x0
	s_or_b32 exec_lo, exec_lo, s4
	s_wait_storecnt 0x0
	s_barrier_signal -1
	s_barrier_wait -1
	s_mov_b32 s4, exec_lo
	v_cmpx_eq_u32_e32 0, v0
	s_cbranch_execz .LBB3_16
; %bb.15:
	v_dual_mov_b32 v3, 0 :: v_dual_mov_b32 v2, s6
	s_load_b128 s[12:15], s[0:1], 0x8
	s_wait_xcnt 0x0
	s_and_b32 s1, s7, 1
	s_mul_i32 s0, s8, 3
	global_load_b32 v1, v3, s[2:3]
	s_wait_xcnt 0x0
	s_lshl_b32 s2, s5, s1
	s_ashr_i32 s1, s0, 31
	v_mov_b32_e32 v0, s2
	s_lshl_b64 s[0:1], s[0:1], 2
	s_wait_kmcnt 0x0
	s_add_nc_u64 s[2:3], s[12:13], s[0:1]
	s_add_nc_u64 s[0:1], s[14:15], s[0:1]
	s_wait_loadcnt 0x0
	global_store_b96 v3, v[0:2], s[2:3]
	s_wait_xcnt 0x0
	v_dual_mov_b32 v0, s6 :: v_dual_mov_b32 v2, s5
	global_store_b96 v3, v[0:2], s[0:1]
.LBB3_16:
	s_endpgm
	.section	.rodata,"a",@progbits
	.p2align	6, 0x0
	.amdhsa_kernel _Z21compute_problem_sizesILb1EEvPKiPiS2_S2_iiib
		.amdhsa_group_segment_fixed_size 0
		.amdhsa_private_segment_fixed_size 0
		.amdhsa_kernarg_size 48
		.amdhsa_user_sgpr_count 2
		.amdhsa_user_sgpr_dispatch_ptr 0
		.amdhsa_user_sgpr_queue_ptr 0
		.amdhsa_user_sgpr_kernarg_segment_ptr 1
		.amdhsa_user_sgpr_dispatch_id 0
		.amdhsa_user_sgpr_kernarg_preload_length 0
		.amdhsa_user_sgpr_kernarg_preload_offset 0
		.amdhsa_user_sgpr_private_segment_size 0
		.amdhsa_wavefront_size32 1
		.amdhsa_uses_dynamic_stack 0
		.amdhsa_enable_private_segment 0
		.amdhsa_system_sgpr_workgroup_id_x 1
		.amdhsa_system_sgpr_workgroup_id_y 0
		.amdhsa_system_sgpr_workgroup_id_z 0
		.amdhsa_system_sgpr_workgroup_info 0
		.amdhsa_system_vgpr_workitem_id 0
		.amdhsa_next_free_vgpr 15
		.amdhsa_next_free_sgpr 16
		.amdhsa_named_barrier_count 0
		.amdhsa_reserve_vcc 1
		.amdhsa_float_round_mode_32 0
		.amdhsa_float_round_mode_16_64 0
		.amdhsa_float_denorm_mode_32 3
		.amdhsa_float_denorm_mode_16_64 3
		.amdhsa_fp16_overflow 0
		.amdhsa_memory_ordered 1
		.amdhsa_forward_progress 1
		.amdhsa_inst_pref_size 6
		.amdhsa_round_robin_scheduling 0
		.amdhsa_exception_fp_ieee_invalid_op 0
		.amdhsa_exception_fp_denorm_src 0
		.amdhsa_exception_fp_ieee_div_zero 0
		.amdhsa_exception_fp_ieee_overflow 0
		.amdhsa_exception_fp_ieee_underflow 0
		.amdhsa_exception_fp_ieee_inexact 0
		.amdhsa_exception_int_div_zero 0
	.end_amdhsa_kernel
	.section	.text._Z21compute_problem_sizesILb1EEvPKiPiS2_S2_iiib,"axG",@progbits,_Z21compute_problem_sizesILb1EEvPKiPiS2_S2_iiib,comdat
.Lfunc_end3:
	.size	_Z21compute_problem_sizesILb1EEvPKiPiS2_S2_iiib, .Lfunc_end3-_Z21compute_problem_sizesILb1EEvPKiPiS2_S2_iiib
                                        ; -- End function
	.set _Z21compute_problem_sizesILb1EEvPKiPiS2_S2_iiib.num_vgpr, 15
	.set _Z21compute_problem_sizesILb1EEvPKiPiS2_S2_iiib.num_agpr, 0
	.set _Z21compute_problem_sizesILb1EEvPKiPiS2_S2_iiib.numbered_sgpr, 16
	.set _Z21compute_problem_sizesILb1EEvPKiPiS2_S2_iiib.num_named_barrier, 0
	.set _Z21compute_problem_sizesILb1EEvPKiPiS2_S2_iiib.private_seg_size, 0
	.set _Z21compute_problem_sizesILb1EEvPKiPiS2_S2_iiib.uses_vcc, 1
	.set _Z21compute_problem_sizesILb1EEvPKiPiS2_S2_iiib.uses_flat_scratch, 0
	.set _Z21compute_problem_sizesILb1EEvPKiPiS2_S2_iiib.has_dyn_sized_stack, 0
	.set _Z21compute_problem_sizesILb1EEvPKiPiS2_S2_iiib.has_recursion, 0
	.set _Z21compute_problem_sizesILb1EEvPKiPiS2_S2_iiib.has_indirect_call, 0
	.section	.AMDGPU.csdata,"",@progbits
; Kernel info:
; codeLenInByte = 752
; TotalNumSgprs: 18
; NumVgprs: 15
; ScratchSize: 0
; MemoryBound: 0
; FloatMode: 240
; IeeeMode: 1
; LDSByteSize: 0 bytes/workgroup (compile time only)
; SGPRBlocks: 0
; VGPRBlocks: 0
; NumSGPRsForWavesPerEU: 18
; NumVGPRsForWavesPerEU: 15
; NamedBarCnt: 0
; Occupancy: 16
; WaveLimiterHint : 0
; COMPUTE_PGM_RSRC2:SCRATCH_EN: 0
; COMPUTE_PGM_RSRC2:USER_SGPR: 2
; COMPUTE_PGM_RSRC2:TRAP_HANDLER: 0
; COMPUTE_PGM_RSRC2:TGID_X_EN: 1
; COMPUTE_PGM_RSRC2:TGID_Y_EN: 0
; COMPUTE_PGM_RSRC2:TGID_Z_EN: 0
; COMPUTE_PGM_RSRC2:TIDIG_COMP_CNT: 0
	.section	.text._Z21compute_problem_sizesILb0EEvPKiPiS2_S2_iiib,"axG",@progbits,_Z21compute_problem_sizesILb0EEvPKiPiS2_S2_iiib,comdat
	.protected	_Z21compute_problem_sizesILb0EEvPKiPiS2_S2_iiib ; -- Begin function _Z21compute_problem_sizesILb0EEvPKiPiS2_S2_iiib
	.globl	_Z21compute_problem_sizesILb0EEvPKiPiS2_S2_iiib
	.p2align	8
	.type	_Z21compute_problem_sizesILb0EEvPKiPiS2_S2_iiib,@function
_Z21compute_problem_sizesILb0EEvPKiPiS2_S2_iiib: ; @_Z21compute_problem_sizesILb0EEvPKiPiS2_S2_iiib
; %bb.0:
	s_load_b128 s[4:7], s[0:1], 0x20
	s_bfe_u32 s2, ttmp6, 0x4000c
	s_and_b32 s3, ttmp6, 15
	s_add_co_i32 s2, s2, 1
	s_getreg_b32 s8, hwreg(HW_REG_IB_STS2, 6, 4)
	s_mul_i32 s2, ttmp9, s2
	v_mov_b32_e32 v1, 0
	s_add_co_i32 s3, s3, s2
	s_cmp_eq_u32 s8, 0
	s_mov_b32 s12, 0
	s_cselect_b32 s8, ttmp9, s3
	s_mov_b32 s3, exec_lo
	s_wait_kmcnt 0x0
	v_cmpx_gt_i32_e64 s4, v0
	s_cbranch_execz .LBB4_10
; %bb.1:
	s_load_b64 s[10:11], s[0:1], 0x0
	v_xad_u32 v3, v0, -1, s4
	v_dual_mov_b32 v1, 0 :: v_dual_mov_b32 v2, v0
	s_mov_b32 s2, -1
	s_mov_b32 s9, exec_lo
	s_delay_alu instid0(VALU_DEP_2)
	v_cmpx_lt_u32_e32 0x1ff, v3
	s_cbranch_execz .LBB4_5
; %bb.2:
	v_dual_lshrrev_b32 v1, 9, v3 :: v_dual_mov_b32 v3, 0
	s_mov_b32 s14, s8
	s_mov_b32 s13, 0
	s_delay_alu instid0(VALU_DEP_1) | instskip(SKIP_1) | instid1(VALU_DEP_2)
	v_dual_mov_b32 v8, 0 :: v_dual_add_nc_u32 v6, 1, v1
	v_add_nc_u32_e32 v1, 0x200, v0
	v_and_b32_e32 v7, 0xfffffe, v6
	s_delay_alu instid0(VALU_DEP_2) | instskip(NEXT) | instid1(VALU_DEP_2)
	v_mov_b64_e32 v[4:5], v[0:1]
	v_dual_mov_b32 v1, 0 :: v_dual_mov_b32 v9, v7
.LBB4_3:                                ; =>This Inner Loop Header: Depth=1
	s_delay_alu instid0(VALU_DEP_1) | instskip(SKIP_2) | instid1(VALU_DEP_2)
	v_dual_mov_b32 v2, v4 :: v_dual_add_nc_u32 v9, -2, v9
	v_add_nc_u32_e32 v4, 0x400, v4
	s_wait_kmcnt 0x0
	v_lshl_add_u64 v[10:11], v[2:3], 2, s[10:11]
	v_dual_mov_b32 v2, v5 :: v_dual_add_nc_u32 v5, 0x400, v5
	v_cmp_eq_u32_e32 vcc_lo, 0, v9
	s_delay_alu instid0(VALU_DEP_2)
	v_lshl_add_u64 v[12:13], v[2:3], 2, s[10:11]
	s_clause 0x1
	global_load_b32 v2, v[10:11], off
	global_load_b32 v14, v[12:13], off
	s_or_b32 s13, vcc_lo, s13
	s_wait_loadcnt 0x1
	v_cmp_eq_u32_e64 s2, s8, v2
	s_delay_alu instid0(VALU_DEP_1) | instskip(SKIP_2) | instid1(VALU_DEP_1)
	v_add_co_ci_u32_e64 v1, null, 0, v1, s2
	s_wait_loadcnt 0x0
	v_cmp_eq_u32_e64 s2, s14, v14
	v_add_co_ci_u32_e64 v8, null, 0, v8, s2
	s_and_not1_b32 exec_lo, exec_lo, s13
	s_cbranch_execnz .LBB4_3
; %bb.4:
	s_or_b32 exec_lo, exec_lo, s13
	v_cmp_ne_u32_e32 vcc_lo, v6, v7
	v_lshl_or_b32 v2, v7, 9, v0
	v_add_nc_u32_e32 v1, v1, v8
	s_or_not1_b32 s2, vcc_lo, exec_lo
.LBB4_5:
	s_or_b32 exec_lo, exec_lo, s9
	s_and_saveexec_b32 s9, s2
	s_cbranch_execz .LBB4_9
; %bb.6:
	v_mov_b32_e32 v3, 0
	s_wait_kmcnt 0x0
	s_delay_alu instid0(VALU_DEP_1)
	v_lshl_add_u64 v[4:5], v[2:3], 2, s[10:11]
	s_mov_b32 s10, 0
.LBB4_7:                                ; =>This Inner Loop Header: Depth=1
	global_load_b32 v3, v[4:5], off
	v_add_nc_u32_e32 v2, 0x200, v2
	s_wait_xcnt 0x0
	v_add_nc_u64_e32 v[4:5], 0x800, v[4:5]
	s_delay_alu instid0(VALU_DEP_2) | instskip(SKIP_3) | instid1(VALU_DEP_1)
	v_cmp_le_i32_e32 vcc_lo, s4, v2
	s_or_b32 s10, vcc_lo, s10
	s_wait_loadcnt 0x0
	v_cmp_eq_u32_e64 s2, s8, v3
	v_add_co_ci_u32_e64 v1, null, 0, v1, s2
	s_and_not1_b32 exec_lo, exec_lo, s10
	s_cbranch_execnz .LBB4_7
; %bb.8:
	s_or_b32 exec_lo, exec_lo, s10
.LBB4_9:
	s_delay_alu instid0(SALU_CYCLE_1)
	s_or_b32 exec_lo, exec_lo, s9
.LBB4_10:
	s_delay_alu instid0(SALU_CYCLE_1) | instskip(NEXT) | instid1(SALU_CYCLE_1)
	s_or_b32 exec_lo, exec_lo, s3
	s_mov_b32 s2, exec_lo
.LBB4_11:                               ; =>This Inner Loop Header: Depth=1
	s_delay_alu instid0(SALU_CYCLE_1) | instskip(NEXT) | instid1(SALU_CYCLE_1)
	s_ctz_i32_b32 s3, s2
	v_readlane_b32 s4, v1, s3
	s_lshl_b32 s3, 1, s3
	s_delay_alu instid0(SALU_CYCLE_1)
	s_and_not1_b32 s2, s2, s3
	s_add_co_i32 s12, s12, s4
	s_cmp_lg_u32 s2, 0
	s_cbranch_scc1 .LBB4_11
; %bb.12:
	s_load_b64 s[2:3], s[0:1], 0x18
	s_ashr_i32 s9, s8, 31
	v_mbcnt_lo_u32_b32 v1, exec_lo, 0
	s_wait_kmcnt 0x0
	s_lshl_b64 s[10:11], s[8:9], 2
	s_mov_b32 s4, exec_lo
	s_add_nc_u64 s[2:3], s[2:3], s[10:11]
	v_cmpx_eq_u32_e32 0, v1
	s_xor_b32 s4, exec_lo, s4
	s_cbranch_execz .LBB4_14
; %bb.13:
	v_dual_mov_b32 v1, 0 :: v_dual_mov_b32 v2, s12
	global_atomic_add_u32 v1, v2, s[2:3] scope:SCOPE_DEV
.LBB4_14:
	s_wait_xcnt 0x0
	s_or_b32 exec_lo, exec_lo, s4
	s_wait_storecnt 0x0
	s_barrier_signal -1
	s_barrier_wait -1
	s_mov_b32 s4, exec_lo
	v_cmpx_eq_u32_e32 0, v0
	s_cbranch_execz .LBB4_16
; %bb.15:
	v_dual_mov_b32 v3, 0 :: v_dual_mov_b32 v2, s6
	s_load_b128 s[12:15], s[0:1], 0x8
	s_wait_xcnt 0x0
	s_and_b32 s1, s7, 1
	s_mul_i32 s0, s8, 3
	global_load_b32 v0, v3, s[2:3]
	s_wait_xcnt 0x0
	s_lshl_b32 s2, s5, s1
	s_ashr_i32 s1, s0, 31
	v_mov_b32_e32 v1, s2
	s_lshl_b64 s[0:1], s[0:1], 2
	s_wait_kmcnt 0x0
	s_add_nc_u64 s[2:3], s[12:13], s[0:1]
	s_add_nc_u64 s[0:1], s[14:15], s[0:1]
	s_wait_loadcnt 0x0
	global_store_b96 v3, v[0:2], s[2:3]
	s_wait_xcnt 0x0
	v_dual_mov_b32 v1, s6 :: v_dual_mov_b32 v2, s5
	global_store_b96 v3, v[0:2], s[0:1]
.LBB4_16:
	s_endpgm
	.section	.rodata,"a",@progbits
	.p2align	6, 0x0
	.amdhsa_kernel _Z21compute_problem_sizesILb0EEvPKiPiS2_S2_iiib
		.amdhsa_group_segment_fixed_size 0
		.amdhsa_private_segment_fixed_size 0
		.amdhsa_kernarg_size 48
		.amdhsa_user_sgpr_count 2
		.amdhsa_user_sgpr_dispatch_ptr 0
		.amdhsa_user_sgpr_queue_ptr 0
		.amdhsa_user_sgpr_kernarg_segment_ptr 1
		.amdhsa_user_sgpr_dispatch_id 0
		.amdhsa_user_sgpr_kernarg_preload_length 0
		.amdhsa_user_sgpr_kernarg_preload_offset 0
		.amdhsa_user_sgpr_private_segment_size 0
		.amdhsa_wavefront_size32 1
		.amdhsa_uses_dynamic_stack 0
		.amdhsa_enable_private_segment 0
		.amdhsa_system_sgpr_workgroup_id_x 1
		.amdhsa_system_sgpr_workgroup_id_y 0
		.amdhsa_system_sgpr_workgroup_id_z 0
		.amdhsa_system_sgpr_workgroup_info 0
		.amdhsa_system_vgpr_workitem_id 0
		.amdhsa_next_free_vgpr 15
		.amdhsa_next_free_sgpr 16
		.amdhsa_named_barrier_count 0
		.amdhsa_reserve_vcc 1
		.amdhsa_float_round_mode_32 0
		.amdhsa_float_round_mode_16_64 0
		.amdhsa_float_denorm_mode_32 3
		.amdhsa_float_denorm_mode_16_64 3
		.amdhsa_fp16_overflow 0
		.amdhsa_memory_ordered 1
		.amdhsa_forward_progress 1
		.amdhsa_inst_pref_size 6
		.amdhsa_round_robin_scheduling 0
		.amdhsa_exception_fp_ieee_invalid_op 0
		.amdhsa_exception_fp_denorm_src 0
		.amdhsa_exception_fp_ieee_div_zero 0
		.amdhsa_exception_fp_ieee_overflow 0
		.amdhsa_exception_fp_ieee_underflow 0
		.amdhsa_exception_fp_ieee_inexact 0
		.amdhsa_exception_int_div_zero 0
	.end_amdhsa_kernel
	.section	.text._Z21compute_problem_sizesILb0EEvPKiPiS2_S2_iiib,"axG",@progbits,_Z21compute_problem_sizesILb0EEvPKiPiS2_S2_iiib,comdat
.Lfunc_end4:
	.size	_Z21compute_problem_sizesILb0EEvPKiPiS2_S2_iiib, .Lfunc_end4-_Z21compute_problem_sizesILb0EEvPKiPiS2_S2_iiib
                                        ; -- End function
	.set _Z21compute_problem_sizesILb0EEvPKiPiS2_S2_iiib.num_vgpr, 15
	.set _Z21compute_problem_sizesILb0EEvPKiPiS2_S2_iiib.num_agpr, 0
	.set _Z21compute_problem_sizesILb0EEvPKiPiS2_S2_iiib.numbered_sgpr, 16
	.set _Z21compute_problem_sizesILb0EEvPKiPiS2_S2_iiib.num_named_barrier, 0
	.set _Z21compute_problem_sizesILb0EEvPKiPiS2_S2_iiib.private_seg_size, 0
	.set _Z21compute_problem_sizesILb0EEvPKiPiS2_S2_iiib.uses_vcc, 1
	.set _Z21compute_problem_sizesILb0EEvPKiPiS2_S2_iiib.uses_flat_scratch, 0
	.set _Z21compute_problem_sizesILb0EEvPKiPiS2_S2_iiib.has_dyn_sized_stack, 0
	.set _Z21compute_problem_sizesILb0EEvPKiPiS2_S2_iiib.has_recursion, 0
	.set _Z21compute_problem_sizesILb0EEvPKiPiS2_S2_iiib.has_indirect_call, 0
	.section	.AMDGPU.csdata,"",@progbits
; Kernel info:
; codeLenInByte = 748
; TotalNumSgprs: 18
; NumVgprs: 15
; ScratchSize: 0
; MemoryBound: 0
; FloatMode: 240
; IeeeMode: 1
; LDSByteSize: 0 bytes/workgroup (compile time only)
; SGPRBlocks: 0
; VGPRBlocks: 0
; NumSGPRsForWavesPerEU: 18
; NumVGPRsForWavesPerEU: 15
; NamedBarCnt: 0
; Occupancy: 16
; WaveLimiterHint : 0
; COMPUTE_PGM_RSRC2:SCRATCH_EN: 0
; COMPUTE_PGM_RSRC2:USER_SGPR: 2
; COMPUTE_PGM_RSRC2:TRAP_HANDLER: 0
; COMPUTE_PGM_RSRC2:TGID_X_EN: 1
; COMPUTE_PGM_RSRC2:TGID_Y_EN: 0
; COMPUTE_PGM_RSRC2:TGID_Z_EN: 0
; COMPUTE_PGM_RSRC2:TIDIG_COMP_CNT: 0
	.section	.text._Z41compute_problem_sizes_from_expert_offsetsILb1EEvPKlPiS2_iii,"axG",@progbits,_Z41compute_problem_sizes_from_expert_offsetsILb1EEvPKlPiS2_iii,comdat
	.protected	_Z41compute_problem_sizes_from_expert_offsetsILb1EEvPKlPiS2_iii ; -- Begin function _Z41compute_problem_sizes_from_expert_offsetsILb1EEvPKlPiS2_iii
	.globl	_Z41compute_problem_sizes_from_expert_offsetsILb1EEvPKlPiS2_iii
	.p2align	8
	.type	_Z41compute_problem_sizes_from_expert_offsetsILb1EEvPKlPiS2_iii,@function
_Z41compute_problem_sizes_from_expert_offsetsILb1EEvPKlPiS2_iii: ; @_Z41compute_problem_sizes_from_expert_offsetsILb1EEvPKlPiS2_iii
; %bb.0:
	s_clause 0x1
	s_load_b32 s2, s[0:1], 0x34
	s_load_b96 s[4:6], s[0:1], 0x18
	s_bfe_u32 s3, ttmp6, 0x4000c
	s_and_b32 s7, ttmp6, 15
	s_add_co_i32 s3, s3, 1
	s_getreg_b32 s8, hwreg(HW_REG_IB_STS2, 6, 4)
	s_mul_i32 s3, ttmp9, s3
	s_delay_alu instid0(SALU_CYCLE_1) | instskip(SKIP_4) | instid1(SALU_CYCLE_1)
	s_add_co_i32 s7, s7, s3
	s_wait_kmcnt 0x0
	s_and_b32 s2, s2, 0xffff
	s_cmp_eq_u32 s8, 0
	s_cselect_b32 s3, ttmp9, s7
	v_mad_u32 v0, s3, s2, v0
	s_mov_b32 s2, exec_lo
	s_delay_alu instid0(VALU_DEP_1)
	v_cmpx_gt_i32_e64 s4, v0
	s_cbranch_execz .LBB5_2
; %bb.1:
	s_load_b128 s[8:11], s[0:1], 0x0
	v_dual_mov_b32 v8, s6 :: v_dual_ashrrev_i32 v1, 31, v0
	s_wait_xcnt 0x0
	s_load_b64 s[0:1], s[0:1], 0x10
	s_lshl_b32 s2, s5, 1
	s_delay_alu instid0(SALU_CYCLE_1)
	v_mov_b32_e32 v6, s2
	s_wait_kmcnt 0x0
	v_lshl_add_u64 v[2:3], v[0:1], 3, s[8:9]
	v_lshl_add_u32 v0, v0, 1, v0
	global_load_b128 v[2:5], v[2:3], off
	v_ashrrev_i32_e32 v1, 31, v0
	s_delay_alu instid0(VALU_DEP_1) | instskip(NEXT) | instid1(VALU_DEP_1)
	v_lshlrev_b64_e32 v[0:1], 2, v[0:1]
	v_add_nc_u64_e32 v[10:11], s[10:11], v[0:1]
	v_add_nc_u64_e32 v[0:1], s[0:1], v[0:1]
	s_wait_loadcnt 0x0
	v_sub_nc_u32_e32 v7, v4, v2
	global_store_b96 v[10:11], v[6:8], off
	s_wait_xcnt 0x0
	v_dual_mov_b32 v6, s6 :: v_dual_mov_b32 v8, s5
	global_store_b96 v[0:1], v[6:8], off
.LBB5_2:
	s_endpgm
	.section	.rodata,"a",@progbits
	.p2align	6, 0x0
	.amdhsa_kernel _Z41compute_problem_sizes_from_expert_offsetsILb1EEvPKlPiS2_iii
		.amdhsa_group_segment_fixed_size 0
		.amdhsa_private_segment_fixed_size 0
		.amdhsa_kernarg_size 296
		.amdhsa_user_sgpr_count 2
		.amdhsa_user_sgpr_dispatch_ptr 0
		.amdhsa_user_sgpr_queue_ptr 0
		.amdhsa_user_sgpr_kernarg_segment_ptr 1
		.amdhsa_user_sgpr_dispatch_id 0
		.amdhsa_user_sgpr_kernarg_preload_length 0
		.amdhsa_user_sgpr_kernarg_preload_offset 0
		.amdhsa_user_sgpr_private_segment_size 0
		.amdhsa_wavefront_size32 1
		.amdhsa_uses_dynamic_stack 0
		.amdhsa_enable_private_segment 0
		.amdhsa_system_sgpr_workgroup_id_x 1
		.amdhsa_system_sgpr_workgroup_id_y 0
		.amdhsa_system_sgpr_workgroup_id_z 0
		.amdhsa_system_sgpr_workgroup_info 0
		.amdhsa_system_vgpr_workitem_id 0
		.amdhsa_next_free_vgpr 12
		.amdhsa_next_free_sgpr 12
		.amdhsa_named_barrier_count 0
		.amdhsa_reserve_vcc 0
		.amdhsa_float_round_mode_32 0
		.amdhsa_float_round_mode_16_64 0
		.amdhsa_float_denorm_mode_32 3
		.amdhsa_float_denorm_mode_16_64 3
		.amdhsa_fp16_overflow 0
		.amdhsa_memory_ordered 1
		.amdhsa_forward_progress 1
		.amdhsa_inst_pref_size 2
		.amdhsa_round_robin_scheduling 0
		.amdhsa_exception_fp_ieee_invalid_op 0
		.amdhsa_exception_fp_denorm_src 0
		.amdhsa_exception_fp_ieee_div_zero 0
		.amdhsa_exception_fp_ieee_overflow 0
		.amdhsa_exception_fp_ieee_underflow 0
		.amdhsa_exception_fp_ieee_inexact 0
		.amdhsa_exception_int_div_zero 0
	.end_amdhsa_kernel
	.section	.text._Z41compute_problem_sizes_from_expert_offsetsILb1EEvPKlPiS2_iii,"axG",@progbits,_Z41compute_problem_sizes_from_expert_offsetsILb1EEvPKlPiS2_iii,comdat
.Lfunc_end5:
	.size	_Z41compute_problem_sizes_from_expert_offsetsILb1EEvPKlPiS2_iii, .Lfunc_end5-_Z41compute_problem_sizes_from_expert_offsetsILb1EEvPKlPiS2_iii
                                        ; -- End function
	.set _Z41compute_problem_sizes_from_expert_offsetsILb1EEvPKlPiS2_iii.num_vgpr, 12
	.set _Z41compute_problem_sizes_from_expert_offsetsILb1EEvPKlPiS2_iii.num_agpr, 0
	.set _Z41compute_problem_sizes_from_expert_offsetsILb1EEvPKlPiS2_iii.numbered_sgpr, 12
	.set _Z41compute_problem_sizes_from_expert_offsetsILb1EEvPKlPiS2_iii.num_named_barrier, 0
	.set _Z41compute_problem_sizes_from_expert_offsetsILb1EEvPKlPiS2_iii.private_seg_size, 0
	.set _Z41compute_problem_sizes_from_expert_offsetsILb1EEvPKlPiS2_iii.uses_vcc, 0
	.set _Z41compute_problem_sizes_from_expert_offsetsILb1EEvPKlPiS2_iii.uses_flat_scratch, 0
	.set _Z41compute_problem_sizes_from_expert_offsetsILb1EEvPKlPiS2_iii.has_dyn_sized_stack, 0
	.set _Z41compute_problem_sizes_from_expert_offsetsILb1EEvPKlPiS2_iii.has_recursion, 0
	.set _Z41compute_problem_sizes_from_expert_offsetsILb1EEvPKlPiS2_iii.has_indirect_call, 0
	.section	.AMDGPU.csdata,"",@progbits
; Kernel info:
; codeLenInByte = 244
; TotalNumSgprs: 12
; NumVgprs: 12
; ScratchSize: 0
; MemoryBound: 0
; FloatMode: 240
; IeeeMode: 1
; LDSByteSize: 0 bytes/workgroup (compile time only)
; SGPRBlocks: 0
; VGPRBlocks: 0
; NumSGPRsForWavesPerEU: 12
; NumVGPRsForWavesPerEU: 12
; NamedBarCnt: 0
; Occupancy: 16
; WaveLimiterHint : 0
; COMPUTE_PGM_RSRC2:SCRATCH_EN: 0
; COMPUTE_PGM_RSRC2:USER_SGPR: 2
; COMPUTE_PGM_RSRC2:TRAP_HANDLER: 0
; COMPUTE_PGM_RSRC2:TGID_X_EN: 1
; COMPUTE_PGM_RSRC2:TGID_Y_EN: 0
; COMPUTE_PGM_RSRC2:TGID_Z_EN: 0
; COMPUTE_PGM_RSRC2:TIDIG_COMP_CNT: 0
	.section	.text._Z41compute_problem_sizes_from_expert_offsetsILb0EEvPKlPiS2_iii,"axG",@progbits,_Z41compute_problem_sizes_from_expert_offsetsILb0EEvPKlPiS2_iii,comdat
	.protected	_Z41compute_problem_sizes_from_expert_offsetsILb0EEvPKlPiS2_iii ; -- Begin function _Z41compute_problem_sizes_from_expert_offsetsILb0EEvPKlPiS2_iii
	.globl	_Z41compute_problem_sizes_from_expert_offsetsILb0EEvPKlPiS2_iii
	.p2align	8
	.type	_Z41compute_problem_sizes_from_expert_offsetsILb0EEvPKlPiS2_iii,@function
_Z41compute_problem_sizes_from_expert_offsetsILb0EEvPKlPiS2_iii: ; @_Z41compute_problem_sizes_from_expert_offsetsILb0EEvPKlPiS2_iii
; %bb.0:
	s_clause 0x1
	s_load_b32 s2, s[0:1], 0x34
	s_load_b96 s[4:6], s[0:1], 0x18
	s_bfe_u32 s3, ttmp6, 0x4000c
	s_and_b32 s7, ttmp6, 15
	s_add_co_i32 s3, s3, 1
	s_getreg_b32 s8, hwreg(HW_REG_IB_STS2, 6, 4)
	s_mul_i32 s3, ttmp9, s3
	s_delay_alu instid0(SALU_CYCLE_1) | instskip(SKIP_4) | instid1(SALU_CYCLE_1)
	s_add_co_i32 s7, s7, s3
	s_wait_kmcnt 0x0
	s_and_b32 s2, s2, 0xffff
	s_cmp_eq_u32 s8, 0
	s_cselect_b32 s3, ttmp9, s7
	v_mad_u32 v0, s3, s2, v0
	s_mov_b32 s2, exec_lo
	s_delay_alu instid0(VALU_DEP_1)
	v_cmpx_gt_i32_e64 s4, v0
	s_cbranch_execz .LBB6_2
; %bb.1:
	s_load_b128 s[8:11], s[0:1], 0x0
	v_dual_mov_b32 v6, s6 :: v_dual_ashrrev_i32 v1, 31, v0
	s_wait_xcnt 0x0
	s_load_b64 s[0:1], s[0:1], 0x10
	s_lshl_b32 s2, s5, 1
	s_wait_kmcnt 0x0
	v_lshl_add_u64 v[2:3], v[0:1], 3, s[8:9]
	v_lshl_add_u32 v0, v0, 1, v0
	global_load_b128 v[2:5], v[2:3], off
	s_wait_loadcnt 0x0
	v_dual_ashrrev_i32 v1, 31, v0 :: v_dual_mov_b32 v5, s2
	s_delay_alu instid0(VALU_DEP_1) | instskip(NEXT) | instid1(VALU_DEP_1)
	v_lshlrev_b64_e32 v[0:1], 2, v[0:1]
	v_add_nc_u64_e32 v[8:9], s[10:11], v[0:1]
	v_add_nc_u64_e32 v[0:1], s[0:1], v[0:1]
	v_sub_nc_u32_e32 v4, v4, v2
	global_store_b96 v[8:9], v[4:6], off
	s_wait_xcnt 0x0
	v_dual_mov_b32 v5, s6 :: v_dual_mov_b32 v6, s5
	global_store_b96 v[0:1], v[4:6], off
.LBB6_2:
	s_endpgm
	.section	.rodata,"a",@progbits
	.p2align	6, 0x0
	.amdhsa_kernel _Z41compute_problem_sizes_from_expert_offsetsILb0EEvPKlPiS2_iii
		.amdhsa_group_segment_fixed_size 0
		.amdhsa_private_segment_fixed_size 0
		.amdhsa_kernarg_size 296
		.amdhsa_user_sgpr_count 2
		.amdhsa_user_sgpr_dispatch_ptr 0
		.amdhsa_user_sgpr_queue_ptr 0
		.amdhsa_user_sgpr_kernarg_segment_ptr 1
		.amdhsa_user_sgpr_dispatch_id 0
		.amdhsa_user_sgpr_kernarg_preload_length 0
		.amdhsa_user_sgpr_kernarg_preload_offset 0
		.amdhsa_user_sgpr_private_segment_size 0
		.amdhsa_wavefront_size32 1
		.amdhsa_uses_dynamic_stack 0
		.amdhsa_enable_private_segment 0
		.amdhsa_system_sgpr_workgroup_id_x 1
		.amdhsa_system_sgpr_workgroup_id_y 0
		.amdhsa_system_sgpr_workgroup_id_z 0
		.amdhsa_system_sgpr_workgroup_info 0
		.amdhsa_system_vgpr_workitem_id 0
		.amdhsa_next_free_vgpr 10
		.amdhsa_next_free_sgpr 12
		.amdhsa_named_barrier_count 0
		.amdhsa_reserve_vcc 0
		.amdhsa_float_round_mode_32 0
		.amdhsa_float_round_mode_16_64 0
		.amdhsa_float_denorm_mode_32 3
		.amdhsa_float_denorm_mode_16_64 3
		.amdhsa_fp16_overflow 0
		.amdhsa_memory_ordered 1
		.amdhsa_forward_progress 1
		.amdhsa_inst_pref_size 2
		.amdhsa_round_robin_scheduling 0
		.amdhsa_exception_fp_ieee_invalid_op 0
		.amdhsa_exception_fp_denorm_src 0
		.amdhsa_exception_fp_ieee_div_zero 0
		.amdhsa_exception_fp_ieee_overflow 0
		.amdhsa_exception_fp_ieee_underflow 0
		.amdhsa_exception_fp_ieee_inexact 0
		.amdhsa_exception_int_div_zero 0
	.end_amdhsa_kernel
	.section	.text._Z41compute_problem_sizes_from_expert_offsetsILb0EEvPKlPiS2_iii,"axG",@progbits,_Z41compute_problem_sizes_from_expert_offsetsILb0EEvPKlPiS2_iii,comdat
.Lfunc_end6:
	.size	_Z41compute_problem_sizes_from_expert_offsetsILb0EEvPKlPiS2_iii, .Lfunc_end6-_Z41compute_problem_sizes_from_expert_offsetsILb0EEvPKlPiS2_iii
                                        ; -- End function
	.set _Z41compute_problem_sizes_from_expert_offsetsILb0EEvPKlPiS2_iii.num_vgpr, 10
	.set _Z41compute_problem_sizes_from_expert_offsetsILb0EEvPKlPiS2_iii.num_agpr, 0
	.set _Z41compute_problem_sizes_from_expert_offsetsILb0EEvPKlPiS2_iii.numbered_sgpr, 12
	.set _Z41compute_problem_sizes_from_expert_offsetsILb0EEvPKlPiS2_iii.num_named_barrier, 0
	.set _Z41compute_problem_sizes_from_expert_offsetsILb0EEvPKlPiS2_iii.private_seg_size, 0
	.set _Z41compute_problem_sizes_from_expert_offsetsILb0EEvPKlPiS2_iii.uses_vcc, 0
	.set _Z41compute_problem_sizes_from_expert_offsetsILb0EEvPKlPiS2_iii.uses_flat_scratch, 0
	.set _Z41compute_problem_sizes_from_expert_offsetsILb0EEvPKlPiS2_iii.has_dyn_sized_stack, 0
	.set _Z41compute_problem_sizes_from_expert_offsetsILb0EEvPKlPiS2_iii.has_recursion, 0
	.set _Z41compute_problem_sizes_from_expert_offsetsILb0EEvPKlPiS2_iii.has_indirect_call, 0
	.section	.AMDGPU.csdata,"",@progbits
; Kernel info:
; codeLenInByte = 240
; TotalNumSgprs: 12
; NumVgprs: 10
; ScratchSize: 0
; MemoryBound: 0
; FloatMode: 240
; IeeeMode: 1
; LDSByteSize: 0 bytes/workgroup (compile time only)
; SGPRBlocks: 0
; VGPRBlocks: 0
; NumSGPRsForWavesPerEU: 12
; NumVGPRsForWavesPerEU: 10
; NamedBarCnt: 0
; Occupancy: 16
; WaveLimiterHint : 0
; COMPUTE_PGM_RSRC2:SCRATCH_EN: 0
; COMPUTE_PGM_RSRC2:USER_SGPR: 2
; COMPUTE_PGM_RSRC2:TRAP_HANDLER: 0
; COMPUTE_PGM_RSRC2:TGID_X_EN: 1
; COMPUTE_PGM_RSRC2:TGID_Y_EN: 0
; COMPUTE_PGM_RSRC2:TGID_Z_EN: 0
; COMPUTE_PGM_RSRC2:TIDIG_COMP_CNT: 0
	.section	.text._Z24compute_batched_moe_dataILb0EEvPiS0_S0_PKiiii,"axG",@progbits,_Z24compute_batched_moe_dataILb0EEvPiS0_S0_PKiiii,comdat
	.protected	_Z24compute_batched_moe_dataILb0EEvPiS0_S0_PKiiii ; -- Begin function _Z24compute_batched_moe_dataILb0EEvPiS0_S0_PKiiii
	.globl	_Z24compute_batched_moe_dataILb0EEvPiS0_S0_PKiiii
	.p2align	8
	.type	_Z24compute_batched_moe_dataILb0EEvPiS0_S0_PKiiii,@function
_Z24compute_batched_moe_dataILb0EEvPiS0_S0_PKiiii: ; @_Z24compute_batched_moe_dataILb0EEvPiS0_S0_PKiiii
; %bb.0:
	s_load_b256 s[4:11], s[0:1], 0x0
	v_mul_u32_u24_e32 v1, 3, v0
	s_wait_xcnt 0x0
	s_load_b96 s[0:2], s[0:1], 0x20
	s_delay_alu instid0(VALU_DEP_1) | instskip(SKIP_4) | instid1(SALU_CYCLE_1)
	v_lshlrev_b32_e32 v1, 2, v1
	s_wait_kmcnt 0x0
	global_load_b32 v2, v0, s[10:11] scale_offset
	v_mul_lo_u32 v5, s0, v0
	s_lshl_b32 s0, s1, 1
	v_dual_mov_b32 v4, s2 :: v_dual_mov_b32 v3, s0
	global_store_b32 v0, v5, s[4:5] scale_offset
	s_wait_loadcnt 0x0
	global_store_b96 v1, v[2:4], s[6:7]
	s_wait_xcnt 0x0
	v_dual_mov_b32 v3, s2 :: v_dual_mov_b32 v4, s1
	global_store_b96 v1, v[2:4], s[8:9]
	s_endpgm
	.section	.rodata,"a",@progbits
	.p2align	6, 0x0
	.amdhsa_kernel _Z24compute_batched_moe_dataILb0EEvPiS0_S0_PKiiii
		.amdhsa_group_segment_fixed_size 0
		.amdhsa_private_segment_fixed_size 0
		.amdhsa_kernarg_size 44
		.amdhsa_user_sgpr_count 2
		.amdhsa_user_sgpr_dispatch_ptr 0
		.amdhsa_user_sgpr_queue_ptr 0
		.amdhsa_user_sgpr_kernarg_segment_ptr 1
		.amdhsa_user_sgpr_dispatch_id 0
		.amdhsa_user_sgpr_kernarg_preload_length 0
		.amdhsa_user_sgpr_kernarg_preload_offset 0
		.amdhsa_user_sgpr_private_segment_size 0
		.amdhsa_wavefront_size32 1
		.amdhsa_uses_dynamic_stack 0
		.amdhsa_enable_private_segment 0
		.amdhsa_system_sgpr_workgroup_id_x 1
		.amdhsa_system_sgpr_workgroup_id_y 0
		.amdhsa_system_sgpr_workgroup_id_z 0
		.amdhsa_system_sgpr_workgroup_info 0
		.amdhsa_system_vgpr_workitem_id 0
		.amdhsa_next_free_vgpr 6
		.amdhsa_next_free_sgpr 12
		.amdhsa_named_barrier_count 0
		.amdhsa_reserve_vcc 0
		.amdhsa_float_round_mode_32 0
		.amdhsa_float_round_mode_16_64 0
		.amdhsa_float_denorm_mode_32 3
		.amdhsa_float_denorm_mode_16_64 3
		.amdhsa_fp16_overflow 0
		.amdhsa_memory_ordered 1
		.amdhsa_forward_progress 1
		.amdhsa_inst_pref_size 1
		.amdhsa_round_robin_scheduling 0
		.amdhsa_exception_fp_ieee_invalid_op 0
		.amdhsa_exception_fp_denorm_src 0
		.amdhsa_exception_fp_ieee_div_zero 0
		.amdhsa_exception_fp_ieee_overflow 0
		.amdhsa_exception_fp_ieee_underflow 0
		.amdhsa_exception_fp_ieee_inexact 0
		.amdhsa_exception_int_div_zero 0
	.end_amdhsa_kernel
	.section	.text._Z24compute_batched_moe_dataILb0EEvPiS0_S0_PKiiii,"axG",@progbits,_Z24compute_batched_moe_dataILb0EEvPiS0_S0_PKiiii,comdat
.Lfunc_end7:
	.size	_Z24compute_batched_moe_dataILb0EEvPiS0_S0_PKiiii, .Lfunc_end7-_Z24compute_batched_moe_dataILb0EEvPiS0_S0_PKiiii
                                        ; -- End function
	.set _Z24compute_batched_moe_dataILb0EEvPiS0_S0_PKiiii.num_vgpr, 6
	.set _Z24compute_batched_moe_dataILb0EEvPiS0_S0_PKiiii.num_agpr, 0
	.set _Z24compute_batched_moe_dataILb0EEvPiS0_S0_PKiiii.numbered_sgpr, 12
	.set _Z24compute_batched_moe_dataILb0EEvPiS0_S0_PKiiii.num_named_barrier, 0
	.set _Z24compute_batched_moe_dataILb0EEvPiS0_S0_PKiiii.private_seg_size, 0
	.set _Z24compute_batched_moe_dataILb0EEvPiS0_S0_PKiiii.uses_vcc, 0
	.set _Z24compute_batched_moe_dataILb0EEvPiS0_S0_PKiiii.uses_flat_scratch, 0
	.set _Z24compute_batched_moe_dataILb0EEvPiS0_S0_PKiiii.has_dyn_sized_stack, 0
	.set _Z24compute_batched_moe_dataILb0EEvPiS0_S0_PKiiii.has_recursion, 0
	.set _Z24compute_batched_moe_dataILb0EEvPiS0_S0_PKiiii.has_indirect_call, 0
	.section	.AMDGPU.csdata,"",@progbits
; Kernel info:
; codeLenInByte = 124
; TotalNumSgprs: 12
; NumVgprs: 6
; ScratchSize: 0
; MemoryBound: 0
; FloatMode: 240
; IeeeMode: 1
; LDSByteSize: 0 bytes/workgroup (compile time only)
; SGPRBlocks: 0
; VGPRBlocks: 0
; NumSGPRsForWavesPerEU: 12
; NumVGPRsForWavesPerEU: 6
; NamedBarCnt: 0
; Occupancy: 16
; WaveLimiterHint : 0
; COMPUTE_PGM_RSRC2:SCRATCH_EN: 0
; COMPUTE_PGM_RSRC2:USER_SGPR: 2
; COMPUTE_PGM_RSRC2:TRAP_HANDLER: 0
; COMPUTE_PGM_RSRC2:TGID_X_EN: 1
; COMPUTE_PGM_RSRC2:TGID_Y_EN: 0
; COMPUTE_PGM_RSRC2:TGID_Z_EN: 0
; COMPUTE_PGM_RSRC2:TIDIG_COMP_CNT: 0
	.section	.text._Z24compute_batched_moe_dataILb1EEvPiS0_S0_PKiiii,"axG",@progbits,_Z24compute_batched_moe_dataILb1EEvPiS0_S0_PKiiii,comdat
	.protected	_Z24compute_batched_moe_dataILb1EEvPiS0_S0_PKiiii ; -- Begin function _Z24compute_batched_moe_dataILb1EEvPiS0_S0_PKiiii
	.globl	_Z24compute_batched_moe_dataILb1EEvPiS0_S0_PKiiii
	.p2align	8
	.type	_Z24compute_batched_moe_dataILb1EEvPiS0_S0_PKiiii,@function
_Z24compute_batched_moe_dataILb1EEvPiS0_S0_PKiiii: ; @_Z24compute_batched_moe_dataILb1EEvPiS0_S0_PKiiii
; %bb.0:
	s_load_b256 s[4:11], s[0:1], 0x0
	v_mul_u32_u24_e32 v1, 3, v0
	s_wait_xcnt 0x0
	s_load_b96 s[0:2], s[0:1], 0x20
	s_delay_alu instid0(VALU_DEP_1) | instskip(SKIP_4) | instid1(SALU_CYCLE_1)
	v_lshlrev_b32_e32 v1, 2, v1
	s_wait_kmcnt 0x0
	global_load_b32 v3, v0, s[10:11] scale_offset
	v_mul_lo_u32 v5, s0, v0
	s_lshl_b32 s0, s1, 1
	v_dual_mov_b32 v4, s2 :: v_dual_mov_b32 v2, s0
	global_store_b32 v0, v5, s[4:5] scale_offset
	s_wait_loadcnt 0x0
	global_store_b96 v1, v[2:4], s[6:7]
	s_wait_xcnt 0x0
	v_dual_mov_b32 v2, s2 :: v_dual_mov_b32 v4, s1
	global_store_b96 v1, v[2:4], s[8:9]
	s_endpgm
	.section	.rodata,"a",@progbits
	.p2align	6, 0x0
	.amdhsa_kernel _Z24compute_batched_moe_dataILb1EEvPiS0_S0_PKiiii
		.amdhsa_group_segment_fixed_size 0
		.amdhsa_private_segment_fixed_size 0
		.amdhsa_kernarg_size 44
		.amdhsa_user_sgpr_count 2
		.amdhsa_user_sgpr_dispatch_ptr 0
		.amdhsa_user_sgpr_queue_ptr 0
		.amdhsa_user_sgpr_kernarg_segment_ptr 1
		.amdhsa_user_sgpr_dispatch_id 0
		.amdhsa_user_sgpr_kernarg_preload_length 0
		.amdhsa_user_sgpr_kernarg_preload_offset 0
		.amdhsa_user_sgpr_private_segment_size 0
		.amdhsa_wavefront_size32 1
		.amdhsa_uses_dynamic_stack 0
		.amdhsa_enable_private_segment 0
		.amdhsa_system_sgpr_workgroup_id_x 1
		.amdhsa_system_sgpr_workgroup_id_y 0
		.amdhsa_system_sgpr_workgroup_id_z 0
		.amdhsa_system_sgpr_workgroup_info 0
		.amdhsa_system_vgpr_workitem_id 0
		.amdhsa_next_free_vgpr 6
		.amdhsa_next_free_sgpr 12
		.amdhsa_named_barrier_count 0
		.amdhsa_reserve_vcc 0
		.amdhsa_float_round_mode_32 0
		.amdhsa_float_round_mode_16_64 0
		.amdhsa_float_denorm_mode_32 3
		.amdhsa_float_denorm_mode_16_64 3
		.amdhsa_fp16_overflow 0
		.amdhsa_memory_ordered 1
		.amdhsa_forward_progress 1
		.amdhsa_inst_pref_size 2
		.amdhsa_round_robin_scheduling 0
		.amdhsa_exception_fp_ieee_invalid_op 0
		.amdhsa_exception_fp_denorm_src 0
		.amdhsa_exception_fp_ieee_div_zero 0
		.amdhsa_exception_fp_ieee_overflow 0
		.amdhsa_exception_fp_ieee_underflow 0
		.amdhsa_exception_fp_ieee_inexact 0
		.amdhsa_exception_int_div_zero 0
	.end_amdhsa_kernel
	.section	.text._Z24compute_batched_moe_dataILb1EEvPiS0_S0_PKiiii,"axG",@progbits,_Z24compute_batched_moe_dataILb1EEvPiS0_S0_PKiiii,comdat
.Lfunc_end8:
	.size	_Z24compute_batched_moe_dataILb1EEvPiS0_S0_PKiiii, .Lfunc_end8-_Z24compute_batched_moe_dataILb1EEvPiS0_S0_PKiiii
                                        ; -- End function
	.set _Z24compute_batched_moe_dataILb1EEvPiS0_S0_PKiiii.num_vgpr, 6
	.set _Z24compute_batched_moe_dataILb1EEvPiS0_S0_PKiiii.num_agpr, 0
	.set _Z24compute_batched_moe_dataILb1EEvPiS0_S0_PKiiii.numbered_sgpr, 12
	.set _Z24compute_batched_moe_dataILb1EEvPiS0_S0_PKiiii.num_named_barrier, 0
	.set _Z24compute_batched_moe_dataILb1EEvPiS0_S0_PKiiii.private_seg_size, 0
	.set _Z24compute_batched_moe_dataILb1EEvPiS0_S0_PKiiii.uses_vcc, 0
	.set _Z24compute_batched_moe_dataILb1EEvPiS0_S0_PKiiii.uses_flat_scratch, 0
	.set _Z24compute_batched_moe_dataILb1EEvPiS0_S0_PKiiii.has_dyn_sized_stack, 0
	.set _Z24compute_batched_moe_dataILb1EEvPiS0_S0_PKiiii.has_recursion, 0
	.set _Z24compute_batched_moe_dataILb1EEvPiS0_S0_PKiiii.has_indirect_call, 0
	.section	.AMDGPU.csdata,"",@progbits
; Kernel info:
; codeLenInByte = 132
; TotalNumSgprs: 12
; NumVgprs: 6
; ScratchSize: 0
; MemoryBound: 0
; FloatMode: 240
; IeeeMode: 1
; LDSByteSize: 0 bytes/workgroup (compile time only)
; SGPRBlocks: 0
; VGPRBlocks: 0
; NumSGPRsForWavesPerEU: 12
; NumVGPRsForWavesPerEU: 6
; NamedBarCnt: 0
; Occupancy: 16
; WaveLimiterHint : 0
; COMPUTE_PGM_RSRC2:SCRATCH_EN: 0
; COMPUTE_PGM_RSRC2:USER_SGPR: 2
; COMPUTE_PGM_RSRC2:TRAP_HANDLER: 0
; COMPUTE_PGM_RSRC2:TGID_X_EN: 1
; COMPUTE_PGM_RSRC2:TGID_Y_EN: 0
; COMPUTE_PGM_RSRC2:TGID_Z_EN: 0
; COMPUTE_PGM_RSRC2:TIDIG_COMP_CNT: 0
	.text
	.p2alignl 7, 3214868480
	.fill 96, 4, 3214868480
	.section	.AMDGPU.gpr_maximums,"",@progbits
	.set amdgpu.max_num_vgpr, 0
	.set amdgpu.max_num_agpr, 0
	.set amdgpu.max_num_sgpr, 0
	.text
	.type	__hip_cuid_4708ddc24bcae39f,@object ; @__hip_cuid_4708ddc24bcae39f
	.section	.bss,"aw",@nobits
	.globl	__hip_cuid_4708ddc24bcae39f
__hip_cuid_4708ddc24bcae39f:
	.byte	0                               ; 0x0
	.size	__hip_cuid_4708ddc24bcae39f, 1

	.ident	"AMD clang version 22.0.0git (https://github.com/RadeonOpenCompute/llvm-project roc-7.2.4 26084 f58b06dce1f9c15707c5f808fd002e18c2accf7e)"
	.section	".note.GNU-stack","",@progbits
	.addrsig
	.addrsig_sym __hip_cuid_4708ddc24bcae39f
	.amdgpu_metadata
---
amdhsa.kernels:
  - .args:
      - .actual_access:  read_only
        .address_space:  global
        .offset:         0
        .size:           8
        .value_kind:     global_buffer
      - .address_space:  global
        .offset:         8
        .size:           8
        .value_kind:     global_buffer
      - .address_space:  global
        .offset:         16
        .size:           8
        .value_kind:     global_buffer
      - .offset:         24
        .size:           4
        .value_kind:     by_value
      - .offset:         28
        .size:           1
        .value_kind:     by_value
    .group_segment_fixed_size: 0
    .kernarg_segment_align: 8
    .kernarg_segment_size: 32
    .language:       OpenCL C
    .language_version:
      - 2
      - 0
    .max_flat_workgroup_size: 1024
    .name:           _Z22compute_expert_offsetsPKiPiS1_ib
    .private_segment_fixed_size: 0
    .sgpr_count:     10
    .sgpr_spill_count: 0
    .symbol:         _Z22compute_expert_offsetsPKiPiS1_ib.kd
    .uniform_work_group_size: 1
    .uses_dynamic_stack: false
    .vgpr_count:     3
    .vgpr_spill_count: 0
    .wavefront_size: 32
  - .args:
      - .actual_access:  read_only
        .address_space:  global
        .offset:         0
        .size:           8
        .value_kind:     global_buffer
      - .address_space:  global
        .offset:         8
        .size:           8
        .value_kind:     global_buffer
      - .address_space:  global
        .offset:         16
        .size:           8
        .value_kind:     global_buffer
      - .address_space:  global
        .offset:         24
        .size:           8
        .value_kind:     global_buffer
      - .offset:         32
        .size:           4
        .value_kind:     by_value
      - .offset:         36
        .size:           1
        .value_kind:     by_value
    .group_segment_fixed_size: 0
    .kernarg_segment_align: 8
    .kernarg_segment_size: 40
    .language:       OpenCL C
    .language_version:
      - 2
      - 0
    .max_flat_workgroup_size: 1024
    .name:           _Z33compute_expert_blockscale_offsetsPKiPiS1_S1_ib
    .private_segment_fixed_size: 0
    .sgpr_count:     13
    .sgpr_spill_count: 0
    .symbol:         _Z33compute_expert_blockscale_offsetsPKiPiS1_S1_ib.kd
    .uniform_work_group_size: 1
    .uses_dynamic_stack: false
    .vgpr_count:     3
    .vgpr_spill_count: 0
    .wavefront_size: 32
  - .args:
      - .actual_access:  read_only
        .address_space:  global
        .offset:         0
        .size:           8
        .value_kind:     global_buffer
      - .actual_access:  read_only
        .address_space:  global
        .offset:         8
        .size:           8
        .value_kind:     global_buffer
      - .address_space:  global
        .offset:         16
        .size:           8
        .value_kind:     global_buffer
      - .address_space:  global
        .offset:         24
        .size:           8
        .value_kind:     global_buffer
      - .address_space:  global
        .offset:         32
        .size:           8
        .value_kind:     global_buffer
      - .offset:         40
        .size:           4
        .value_kind:     by_value
      - .offset:         44
        .size:           4
        .value_kind:     by_value
      - .offset:         48
        .size:           4
        .value_kind:     hidden_block_count_x
      - .offset:         52
        .size:           4
        .value_kind:     hidden_block_count_y
      - .offset:         56
        .size:           4
        .value_kind:     hidden_block_count_z
      - .offset:         60
        .size:           2
        .value_kind:     hidden_group_size_x
      - .offset:         62
        .size:           2
        .value_kind:     hidden_group_size_y
      - .offset:         64
        .size:           2
        .value_kind:     hidden_group_size_z
      - .offset:         66
        .size:           2
        .value_kind:     hidden_remainder_x
      - .offset:         68
        .size:           2
        .value_kind:     hidden_remainder_y
      - .offset:         70
        .size:           2
        .value_kind:     hidden_remainder_z
      - .offset:         88
        .size:           8
        .value_kind:     hidden_global_offset_x
      - .offset:         96
        .size:           8
        .value_kind:     hidden_global_offset_y
      - .offset:         104
        .size:           8
        .value_kind:     hidden_global_offset_z
      - .offset:         112
        .size:           2
        .value_kind:     hidden_grid_dims
    .group_segment_fixed_size: 0
    .kernarg_segment_align: 8
    .kernarg_segment_size: 304
    .language:       OpenCL C
    .language_version:
      - 2
      - 0
    .max_flat_workgroup_size: 1024
    .name:           _Z17compute_arg_sortsPKiS0_PiS1_S1_ii
    .private_segment_fixed_size: 0
    .sgpr_count:     23
    .sgpr_spill_count: 0
    .symbol:         _Z17compute_arg_sortsPKiS0_PiS1_S1_ii.kd
    .uniform_work_group_size: 1
    .uses_dynamic_stack: false
    .vgpr_count:     9
    .vgpr_spill_count: 0
    .wavefront_size: 32
  - .args:
      - .actual_access:  read_only
        .address_space:  global
        .offset:         0
        .size:           8
        .value_kind:     global_buffer
      - .address_space:  global
        .offset:         8
        .size:           8
        .value_kind:     global_buffer
      - .address_space:  global
        .offset:         16
        .size:           8
        .value_kind:     global_buffer
      - .address_space:  global
        .offset:         24
        .size:           8
        .value_kind:     global_buffer
      - .offset:         32
        .size:           4
        .value_kind:     by_value
      - .offset:         36
        .size:           4
        .value_kind:     by_value
      - .offset:         40
        .size:           4
        .value_kind:     by_value
      - .offset:         44
        .size:           1
        .value_kind:     by_value
    .group_segment_fixed_size: 0
    .kernarg_segment_align: 8
    .kernarg_segment_size: 48
    .language:       OpenCL C
    .language_version:
      - 2
      - 0
    .max_flat_workgroup_size: 1024
    .name:           _Z21compute_problem_sizesILb1EEvPKiPiS2_S2_iiib
    .private_segment_fixed_size: 0
    .sgpr_count:     18
    .sgpr_spill_count: 0
    .symbol:         _Z21compute_problem_sizesILb1EEvPKiPiS2_S2_iiib.kd
    .uniform_work_group_size: 1
    .uses_dynamic_stack: false
    .vgpr_count:     15
    .vgpr_spill_count: 0
    .wavefront_size: 32
  - .args:
      - .actual_access:  read_only
        .address_space:  global
        .offset:         0
        .size:           8
        .value_kind:     global_buffer
      - .address_space:  global
        .offset:         8
        .size:           8
        .value_kind:     global_buffer
      - .address_space:  global
        .offset:         16
        .size:           8
        .value_kind:     global_buffer
      - .address_space:  global
        .offset:         24
        .size:           8
        .value_kind:     global_buffer
      - .offset:         32
        .size:           4
        .value_kind:     by_value
      - .offset:         36
        .size:           4
        .value_kind:     by_value
      - .offset:         40
        .size:           4
        .value_kind:     by_value
      - .offset:         44
        .size:           1
        .value_kind:     by_value
    .group_segment_fixed_size: 0
    .kernarg_segment_align: 8
    .kernarg_segment_size: 48
    .language:       OpenCL C
    .language_version:
      - 2
      - 0
    .max_flat_workgroup_size: 1024
    .name:           _Z21compute_problem_sizesILb0EEvPKiPiS2_S2_iiib
    .private_segment_fixed_size: 0
    .sgpr_count:     18
    .sgpr_spill_count: 0
    .symbol:         _Z21compute_problem_sizesILb0EEvPKiPiS2_S2_iiib.kd
    .uniform_work_group_size: 1
    .uses_dynamic_stack: false
    .vgpr_count:     15
    .vgpr_spill_count: 0
    .wavefront_size: 32
  - .args:
      - .actual_access:  read_only
        .address_space:  global
        .offset:         0
        .size:           8
        .value_kind:     global_buffer
      - .actual_access:  write_only
        .address_space:  global
        .offset:         8
        .size:           8
        .value_kind:     global_buffer
      - .actual_access:  write_only
        .address_space:  global
        .offset:         16
        .size:           8
        .value_kind:     global_buffer
      - .offset:         24
        .size:           4
        .value_kind:     by_value
      - .offset:         28
        .size:           4
        .value_kind:     by_value
      - .offset:         32
        .size:           4
        .value_kind:     by_value
      - .offset:         40
        .size:           4
        .value_kind:     hidden_block_count_x
      - .offset:         44
        .size:           4
        .value_kind:     hidden_block_count_y
      - .offset:         48
        .size:           4
        .value_kind:     hidden_block_count_z
      - .offset:         52
        .size:           2
        .value_kind:     hidden_group_size_x
      - .offset:         54
        .size:           2
        .value_kind:     hidden_group_size_y
      - .offset:         56
        .size:           2
        .value_kind:     hidden_group_size_z
      - .offset:         58
        .size:           2
        .value_kind:     hidden_remainder_x
      - .offset:         60
        .size:           2
        .value_kind:     hidden_remainder_y
      - .offset:         62
        .size:           2
        .value_kind:     hidden_remainder_z
      - .offset:         80
        .size:           8
        .value_kind:     hidden_global_offset_x
      - .offset:         88
        .size:           8
        .value_kind:     hidden_global_offset_y
      - .offset:         96
        .size:           8
        .value_kind:     hidden_global_offset_z
      - .offset:         104
        .size:           2
        .value_kind:     hidden_grid_dims
    .group_segment_fixed_size: 0
    .kernarg_segment_align: 8
    .kernarg_segment_size: 296
    .language:       OpenCL C
    .language_version:
      - 2
      - 0
    .max_flat_workgroup_size: 1024
    .name:           _Z41compute_problem_sizes_from_expert_offsetsILb1EEvPKlPiS2_iii
    .private_segment_fixed_size: 0
    .sgpr_count:     12
    .sgpr_spill_count: 0
    .symbol:         _Z41compute_problem_sizes_from_expert_offsetsILb1EEvPKlPiS2_iii.kd
    .uniform_work_group_size: 1
    .uses_dynamic_stack: false
    .vgpr_count:     12
    .vgpr_spill_count: 0
    .wavefront_size: 32
  - .args:
      - .actual_access:  read_only
        .address_space:  global
        .offset:         0
        .size:           8
        .value_kind:     global_buffer
      - .actual_access:  write_only
        .address_space:  global
        .offset:         8
        .size:           8
        .value_kind:     global_buffer
      - .actual_access:  write_only
        .address_space:  global
        .offset:         16
        .size:           8
        .value_kind:     global_buffer
      - .offset:         24
        .size:           4
        .value_kind:     by_value
      - .offset:         28
        .size:           4
        .value_kind:     by_value
      - .offset:         32
        .size:           4
        .value_kind:     by_value
      - .offset:         40
        .size:           4
        .value_kind:     hidden_block_count_x
      - .offset:         44
        .size:           4
        .value_kind:     hidden_block_count_y
      - .offset:         48
        .size:           4
        .value_kind:     hidden_block_count_z
      - .offset:         52
        .size:           2
        .value_kind:     hidden_group_size_x
      - .offset:         54
        .size:           2
        .value_kind:     hidden_group_size_y
      - .offset:         56
        .size:           2
        .value_kind:     hidden_group_size_z
      - .offset:         58
        .size:           2
        .value_kind:     hidden_remainder_x
      - .offset:         60
        .size:           2
        .value_kind:     hidden_remainder_y
      - .offset:         62
        .size:           2
        .value_kind:     hidden_remainder_z
      - .offset:         80
        .size:           8
        .value_kind:     hidden_global_offset_x
      - .offset:         88
        .size:           8
        .value_kind:     hidden_global_offset_y
      - .offset:         96
        .size:           8
        .value_kind:     hidden_global_offset_z
      - .offset:         104
        .size:           2
        .value_kind:     hidden_grid_dims
    .group_segment_fixed_size: 0
    .kernarg_segment_align: 8
    .kernarg_segment_size: 296
    .language:       OpenCL C
    .language_version:
      - 2
      - 0
    .max_flat_workgroup_size: 1024
    .name:           _Z41compute_problem_sizes_from_expert_offsetsILb0EEvPKlPiS2_iii
    .private_segment_fixed_size: 0
    .sgpr_count:     12
    .sgpr_spill_count: 0
    .symbol:         _Z41compute_problem_sizes_from_expert_offsetsILb0EEvPKlPiS2_iii.kd
    .uniform_work_group_size: 1
    .uses_dynamic_stack: false
    .vgpr_count:     10
    .vgpr_spill_count: 0
    .wavefront_size: 32
  - .args:
      - .address_space:  global
        .offset:         0
        .size:           8
        .value_kind:     global_buffer
      - .address_space:  global
        .offset:         8
        .size:           8
        .value_kind:     global_buffer
      - .address_space:  global
        .offset:         16
        .size:           8
        .value_kind:     global_buffer
      - .actual_access:  read_only
        .address_space:  global
        .offset:         24
        .size:           8
        .value_kind:     global_buffer
      - .offset:         32
        .size:           4
        .value_kind:     by_value
      - .offset:         36
        .size:           4
        .value_kind:     by_value
      - .offset:         40
        .size:           4
        .value_kind:     by_value
    .group_segment_fixed_size: 0
    .kernarg_segment_align: 8
    .kernarg_segment_size: 44
    .language:       OpenCL C
    .language_version:
      - 2
      - 0
    .max_flat_workgroup_size: 1024
    .name:           _Z24compute_batched_moe_dataILb0EEvPiS0_S0_PKiiii
    .private_segment_fixed_size: 0
    .sgpr_count:     12
    .sgpr_spill_count: 0
    .symbol:         _Z24compute_batched_moe_dataILb0EEvPiS0_S0_PKiiii.kd
    .uniform_work_group_size: 1
    .uses_dynamic_stack: false
    .vgpr_count:     6
    .vgpr_spill_count: 0
    .wavefront_size: 32
  - .args:
      - .address_space:  global
        .offset:         0
        .size:           8
        .value_kind:     global_buffer
      - .address_space:  global
        .offset:         8
        .size:           8
        .value_kind:     global_buffer
      - .address_space:  global
        .offset:         16
        .size:           8
        .value_kind:     global_buffer
      - .actual_access:  read_only
        .address_space:  global
        .offset:         24
        .size:           8
        .value_kind:     global_buffer
      - .offset:         32
        .size:           4
        .value_kind:     by_value
      - .offset:         36
        .size:           4
        .value_kind:     by_value
      - .offset:         40
        .size:           4
        .value_kind:     by_value
    .group_segment_fixed_size: 0
    .kernarg_segment_align: 8
    .kernarg_segment_size: 44
    .language:       OpenCL C
    .language_version:
      - 2
      - 0
    .max_flat_workgroup_size: 1024
    .name:           _Z24compute_batched_moe_dataILb1EEvPiS0_S0_PKiiii
    .private_segment_fixed_size: 0
    .sgpr_count:     12
    .sgpr_spill_count: 0
    .symbol:         _Z24compute_batched_moe_dataILb1EEvPiS0_S0_PKiiii.kd
    .uniform_work_group_size: 1
    .uses_dynamic_stack: false
    .vgpr_count:     6
    .vgpr_spill_count: 0
    .wavefront_size: 32
amdhsa.target:   amdgcn-amd-amdhsa--gfx1250
amdhsa.version:
  - 1
  - 2
...

	.end_amdgpu_metadata
